;; amdgpu-corpus repo=ggml-org/llama.cpp kind=compiled arch=gfx1030 opt=O3
	.amdgcn_target "amdgcn-amd-amdhsa--gfx1030"
	.amdhsa_code_object_version 6
	.section	.text._ZL25dequantize_block_q8_0_f16ILb0EEvPKvP6__halfl,"axG",@progbits,_ZL25dequantize_block_q8_0_f16ILb0EEvPKvP6__halfl,comdat
	.globl	_ZL25dequantize_block_q8_0_f16ILb0EEvPKvP6__halfl ; -- Begin function _ZL25dequantize_block_q8_0_f16ILb0EEvPKvP6__halfl
	.p2align	8
	.type	_ZL25dequantize_block_q8_0_f16ILb0EEvPKvP6__halfl,@function
_ZL25dequantize_block_q8_0_f16ILb0EEvPKvP6__halfl: ; @_ZL25dequantize_block_q8_0_f16ILb0EEvPKvP6__halfl
; %bb.0:
	s_load_dwordx4 s[0:3], s[4:5], 0x0
	s_mov_b32 s5, 0
	s_mul_i32 s4, s6, 0x220
	v_lshlrev_b32_e32 v4, 2, v0
	s_lshl_b64 s[8:9], s[4:5], 2
	s_lshl_b32 s4, s6, 11
	v_lshrrev_b32_e32 v22, 4, v0
	v_mul_u32_u24_e32 v21, 34, v22
	s_waitcnt lgkmcnt(0)
	s_add_u32 s0, s0, s8
	s_addc_u32 s1, s1, s9
	v_add_co_u32 v2, s6, s0, v4
	v_add_co_ci_u32_e64 v3, null, s1, 0, s6
	s_clause 0xd
	global_load_dword v19, v4, s[0:1]
	global_load_dword v20, v4, s[0:1] offset:128
	global_load_dword v16, v4, s[0:1] offset:256
	;; [unrolled: 1-line block ×13, first 2 shown]
	v_add_co_u32 v2, vcc_lo, 0x800, v2
	v_add_co_ci_u32_e64 v3, null, 0, v3, vcc_lo
	s_clause 0x2
	global_load_dword v5, v4, s[0:1] offset:768
	global_load_dword v6, v4, s[0:1] offset:896
	global_load_dword v8, v[2:3], off
	v_lshlrev_b32_e32 v3, 1, v0
	v_and_b32_e32 v2, 15, v0
	v_add_nc_u32_e32 v0, 0x400, v4
	s_lshl_b64 s[0:1], s[4:5], 1
	v_add_nc_u32_e32 v23, 64, v3
	v_add_nc_u32_e32 v24, 0x80, v3
	;; [unrolled: 1-line block ×19, first 2 shown]
	v_lshlrev_b32_e32 v2, 1, v2
	v_lshrrev_b32_e32 v23, 5, v23
	v_lshrrev_b32_e32 v24, 5, v24
	;; [unrolled: 1-line block ×19, first 2 shown]
	v_mad_u32_u24 v22, v22, 34, v2
	v_mul_u32_u24_e32 v50, 34, v23
	v_mad_u32_u24 v23, v23, 34, v2
	v_mul_u32_u24_e32 v51, 34, v24
	;; [unrolled: 2-line block ×10, first 2 shown]
	v_mad_u32_u24 v32, v32, 34, v2
	v_add_nc_u32_e32 v42, 0x500, v3
	v_add_nc_u32_e32 v43, 0x540, v3
	;; [unrolled: 1-line block ×5, first 2 shown]
	v_lshrrev_b32_e32 v42, 5, v42
	v_lshrrev_b32_e32 v43, 5, v43
	;; [unrolled: 1-line block ×4, first 2 shown]
	v_add_nc_u32_e32 v47, 0x640, v3
	v_add_nc_u32_e32 v48, 0x680, v3
	;; [unrolled: 1-line block ×3, first 2 shown]
	v_lshrrev_b32_e32 v46, 5, v46
	s_add_u32 s0, s2, s0
	v_lshrrev_b32_e32 v47, 5, v47
	v_lshrrev_b32_e32 v48, 5, v48
	;; [unrolled: 1-line block ×3, first 2 shown]
	s_addc_u32 s1, s3, s1
	s_waitcnt vmcnt(15)
	ds_write2_b32 v4, v19, v20 offset1:32
	v_mul_u32_u24_e32 v19, 34, v33
	v_mad_u32_u24 v20, v33, 34, v2
	v_mul_u32_u24_e32 v33, 34, v34
	v_mad_u32_u24 v34, v34, 34, v2
	s_waitcnt vmcnt(13)
	ds_write2_b32 v4, v16, v18 offset0:64 offset1:96
	v_mul_u32_u24_e32 v16, 34, v35
	v_mad_u32_u24 v18, v35, 34, v2
	v_mul_u32_u24_e32 v35, 34, v36
	v_mad_u32_u24 v36, v36, 34, v2
	s_waitcnt vmcnt(11)
	ds_write2_b32 v4, v11, v13 offset0:128 offset1:160
	v_mul_u32_u24_e32 v11, 34, v37
	v_mad_u32_u24 v13, v37, 34, v2
	v_mul_u32_u24_e32 v37, 34, v38
	v_mad_u32_u24 v38, v38, 34, v2
	s_waitcnt vmcnt(9)
	ds_write2_b32 v0, v14, v17 offset1:32
	v_mul_u32_u24_e32 v14, 34, v39
	v_mad_u32_u24 v17, v39, 34, v2
	v_mul_u32_u24_e32 v39, 34, v40
	v_mad_u32_u24 v40, v40, 34, v2
	s_waitcnt vmcnt(7)
	ds_write2_b32 v0, v12, v15 offset0:64 offset1:96
	v_mul_u32_u24_e32 v12, 34, v41
	v_mad_u32_u24 v15, v41, 34, v2
	s_waitcnt vmcnt(5)
	ds_write2_b32 v0, v9, v10 offset0:128 offset1:160
	s_waitcnt vmcnt(3)
	ds_write2_b32 v0, v1, v7 offset0:192 offset1:224
	;; [unrolled: 2-line block ×3, first 2 shown]
	s_waitcnt vmcnt(0)
	ds_write_b32 v4, v8 offset:2048
	s_waitcnt lgkmcnt(0)
	s_barrier
	buffer_gl0_inv
	ds_read_u16 v5, v21
	ds_read_u16 v6, v22 offset:2
	ds_read_u16 v8, v50
	ds_read_u16 v21, v23 offset:2
	;; [unrolled: 2-line block ×20, first 2 shown]
	s_waitcnt lgkmcnt(38)
	v_ashrrev_i16 v57, 8, v6
	s_waitcnt lgkmcnt(36)
	v_ashrrev_i16 v58, 8, v21
	;; [unrolled: 2-line block ×3, first 2 shown]
	v_cvt_f16_i16_sdwa v6, sext(v6) dst_sel:DWORD dst_unused:UNUSED_PAD src0_sel:BYTE_0
	v_cvt_f16_i16_sdwa v21, sext(v21) dst_sel:DWORD dst_unused:UNUSED_PAD src0_sel:BYTE_0
	v_cvt_f16_i16_e32 v57, v57
	v_cvt_f16_i16_e32 v58, v58
	v_cvt_f16_i16_sdwa v23, sext(v23) dst_sel:DWORD dst_unused:UNUSED_PAD src0_sel:BYTE_0
	v_cvt_f16_i16_e32 v59, v59
	v_mul_u32_u24_e32 v41, 34, v42
	v_pack_b32_f16 v6, v6, v57
	s_waitcnt lgkmcnt(32)
	v_ashrrev_i16 v57, 8, v25
	v_pack_b32_f16 v21, v21, v58
	s_waitcnt lgkmcnt(30)
	v_ashrrev_i16 v58, 8, v26
	v_pack_b32_f16 v23, v23, v59
	s_waitcnt lgkmcnt(28)
	v_ashrrev_i16 v59, 8, v27
	v_cvt_f16_i16_sdwa v25, sext(v25) dst_sel:DWORD dst_unused:UNUSED_PAD src0_sel:BYTE_0
	v_cvt_f16_i16_e32 v57, v57
	v_cvt_f16_i16_sdwa v26, sext(v26) dst_sel:DWORD dst_unused:UNUSED_PAD src0_sel:BYTE_0
	v_cvt_f16_i16_e32 v58, v58
	v_cvt_f16_i16_sdwa v27, sext(v27) dst_sel:DWORD dst_unused:UNUSED_PAD src0_sel:BYTE_0
	v_cvt_f16_i16_e32 v59, v59
	v_pack_b32_f16 v25, v25, v57
	s_waitcnt lgkmcnt(26)
	v_ashrrev_i16 v57, 8, v28
	v_pack_b32_f16 v26, v26, v58
	s_waitcnt lgkmcnt(24)
	v_ashrrev_i16 v58, 8, v29
	v_pack_b32_f16 v27, v27, v59
	s_waitcnt lgkmcnt(22)
	v_ashrrev_i16 v59, 8, v30
	v_cvt_f16_i16_sdwa v28, sext(v28) dst_sel:DWORD dst_unused:UNUSED_PAD src0_sel:BYTE_0
	v_cvt_f16_i16_e32 v57, v57
	v_cvt_f16_i16_sdwa v29, sext(v29) dst_sel:DWORD dst_unused:UNUSED_PAD src0_sel:BYTE_0
	v_cvt_f16_i16_e32 v58, v58
	v_cvt_f16_i16_sdwa v30, sext(v30) dst_sel:DWORD dst_unused:UNUSED_PAD src0_sel:BYTE_0
	v_cvt_f16_i16_e32 v59, v59
	v_pack_b32_f16 v28, v28, v57
	s_waitcnt lgkmcnt(20)
	v_ashrrev_i16 v57, 8, v31
	v_pack_b32_f16 v29, v29, v58
	s_waitcnt lgkmcnt(18)
	v_ashrrev_i16 v58, 8, v32
	v_pack_b32_f16 v30, v30, v59
	s_waitcnt lgkmcnt(16)
	v_ashrrev_i16 v59, 8, v20
	v_cvt_f16_i16_sdwa v31, sext(v31) dst_sel:DWORD dst_unused:UNUSED_PAD src0_sel:BYTE_0
	v_cvt_f16_i16_e32 v57, v57
	v_cvt_f16_i16_sdwa v32, sext(v32) dst_sel:DWORD dst_unused:UNUSED_PAD src0_sel:BYTE_0
	v_cvt_f16_i16_e32 v58, v58
	v_cvt_f16_i16_sdwa v20, sext(v20) dst_sel:DWORD dst_unused:UNUSED_PAD src0_sel:BYTE_0
	v_cvt_f16_i16_e32 v59, v59
	v_pack_b32_f16 v31, v31, v57
	s_waitcnt lgkmcnt(14)
	v_ashrrev_i16 v57, 8, v34
	v_pack_b32_f16 v32, v32, v58
	s_waitcnt lgkmcnt(12)
	v_ashrrev_i16 v58, 8, v18
	;; [unrolled: 3-line block ×3, first 2 shown]
	v_cvt_f16_i16_sdwa v34, sext(v34) dst_sel:DWORD dst_unused:UNUSED_PAD src0_sel:BYTE_0
	v_cvt_f16_i16_e32 v57, v57
	v_mad_u32_u24 v42, v42, 34, v2
	v_mul_u32_u24_e32 v9, 34, v43
	v_cvt_f16_i16_sdwa v18, sext(v18) dst_sel:DWORD dst_unused:UNUSED_PAD src0_sel:BYTE_0
	v_cvt_f16_i16_e32 v58, v58
	v_mad_u32_u24 v10, v43, 34, v2
	v_mul_u32_u24_e32 v43, 34, v44
	v_mad_u32_u24 v7, v44, 34, v2
	v_mul_u32_u24_e32 v44, 34, v45
	v_mad_u32_u24 v45, v45, 34, v2
	v_cvt_f16_i16_sdwa v36, sext(v36) dst_sel:DWORD dst_unused:UNUSED_PAD src0_sel:BYTE_0
	v_cvt_f16_i16_e32 v59, v59
	ds_read_u16 v41, v41
	ds_read_u16 v42, v42 offset:2
	ds_read_u16 v9, v9
	ds_read_u16 v10, v10 offset:2
	;; [unrolled: 2-line block ×4, first 2 shown]
	v_pack_b32_f16 v34, v34, v57
	s_waitcnt lgkmcnt(16)
	v_ashrrev_i16 v57, 8, v13
	v_pack_b32_f16 v18, v18, v58
	s_waitcnt lgkmcnt(14)
	v_ashrrev_i16 v58, 8, v38
	v_pack_b32_f16 v36, v36, v59
	s_waitcnt lgkmcnt(12)
	v_ashrrev_i16 v59, 8, v17
	v_cvt_f16_i16_sdwa v13, sext(v13) dst_sel:DWORD dst_unused:UNUSED_PAD src0_sel:BYTE_0
	v_cvt_f16_i16_e32 v57, v57
	v_cvt_f16_i16_sdwa v38, sext(v38) dst_sel:DWORD dst_unused:UNUSED_PAD src0_sel:BYTE_0
	v_cvt_f16_i16_e32 v58, v58
	v_cvt_f16_i16_sdwa v17, sext(v17) dst_sel:DWORD dst_unused:UNUSED_PAD src0_sel:BYTE_0
	v_cvt_f16_i16_e32 v59, v59
	v_pack_b32_f16 v13, v13, v57
	s_waitcnt lgkmcnt(10)
	v_ashrrev_i16 v57, 8, v40
	v_pack_b32_f16 v38, v38, v58
	s_waitcnt lgkmcnt(8)
	v_ashrrev_i16 v58, 8, v15
	v_pack_b32_f16 v17, v17, v59
	s_waitcnt lgkmcnt(6)
	v_ashrrev_i16 v59, 8, v42
	v_cvt_f16_i16_sdwa v40, sext(v40) dst_sel:DWORD dst_unused:UNUSED_PAD src0_sel:BYTE_0
	v_cvt_f16_i16_e32 v57, v57
	v_cvt_f16_i16_sdwa v15, sext(v15) dst_sel:DWORD dst_unused:UNUSED_PAD src0_sel:BYTE_0
	v_cvt_f16_i16_e32 v58, v58
	v_cvt_f16_i16_sdwa v42, sext(v42) dst_sel:DWORD dst_unused:UNUSED_PAD src0_sel:BYTE_0
	v_cvt_f16_i16_e32 v59, v59
	;; [unrolled: 15-line block ×3, first 2 shown]
	v_mul_u32_u24_e32 v5, 0x10001, v5
	v_pack_b32_f16 v10, v10, v57
	v_mul_u32_u24_e32 v57, 34, v46
	v_mad_u32_u24 v46, v46, 34, v2
	v_pack_b32_f16 v7, v7, v58
	v_mul_u32_u24_e32 v58, 34, v47
	v_mad_u32_u24 v47, v47, 34, v2
	v_pack_b32_f16 v45, v45, v59
	v_mul_u32_u24_e32 v59, 34, v48
	v_mad_u32_u24 v48, v48, 34, v2
	v_pk_mul_f16 v5, v6, v5
	v_mul_u32_u24_e32 v6, 34, v49
	v_mad_u32_u24 v49, v49, 34, v2
	v_add_co_u32 v0, s2, s0, v4
	ds_read_u16 v57, v57
	ds_read_u16 v46, v46 offset:2
	ds_read_u16 v58, v58
	ds_read_u16 v47, v47 offset:2
	;; [unrolled: 2-line block ×4, first 2 shown]
	v_add_co_ci_u32_e64 v1, null, s1, 0, s2
	v_mul_u32_u24_e32 v43, 0x10001, v43
	v_mul_u32_u24_e32 v8, 0x10001, v8
	;; [unrolled: 1-line block ×3, first 2 shown]
	v_add_co_u32 v0, vcc_lo, 0x800, v0
	v_mul_u32_u24_e32 v24, 0x10001, v24
	v_mul_u32_u24_e32 v50, 0x10001, v50
	v_add_co_ci_u32_e64 v1, null, 0, v1, vcc_lo
	v_mul_u32_u24_e32 v51, 0x10001, v51
	v_mul_u32_u24_e32 v52, 0x10001, v52
	v_mul_u32_u24_e32 v53, 0x10001, v53
	v_mul_u32_u24_e32 v54, 0x10001, v54
	v_mul_u32_u24_e32 v55, 0x10001, v55
	v_mul_u32_u24_e32 v56, 0x10001, v56
	v_mul_u32_u24_e32 v19, 0x10001, v19
	v_mul_u32_u24_e32 v33, 0x10001, v33
	v_mul_u32_u24_e32 v16, 0x10001, v16
	v_mul_u32_u24_e32 v35, 0x10001, v35
	v_mul_u32_u24_e32 v11, 0x10001, v11
	v_mul_u32_u24_e32 v37, 0x10001, v37
	v_mul_u32_u24_e32 v14, 0x10001, v14
	v_mul_u32_u24_e32 v39, 0x10001, v39
	v_mul_u32_u24_e32 v12, 0x10001, v12
	v_mul_u32_u24_e32 v41, 0x10001, v41
	v_mul_u32_u24_e32 v44, 0x10001, v44
	v_pk_mul_f16 v7, v7, v43
	v_pk_mul_f16 v8, v21, v8
	;; [unrolled: 1-line block ×21, first 2 shown]
	global_store_dword v4, v5, s[0:1]
	global_store_dword v4, v8, s[0:1] offset:128
	global_store_dword v4, v22, s[0:1] offset:256
	;; [unrolled: 1-line block ×15, first 2 shown]
	global_store_dword v[0:1], v13, off
	global_store_dword v[0:1], v14, off offset:128
	global_store_dword v[0:1], v17, off offset:256
	;; [unrolled: 1-line block ×5, first 2 shown]
	v_pk_mul_f16 v7, v45, v44
	v_mul_u32_u24_e32 v9, 0x10001, v9
	s_waitcnt lgkmcnt(6)
	v_ashrrev_i16 v21, 8, v46
	v_cvt_f16_i16_sdwa v5, sext(v46) dst_sel:DWORD dst_unused:UNUSED_PAD src0_sel:BYTE_0
	s_waitcnt lgkmcnt(4)
	v_ashrrev_i16 v8, 8, v47
	global_store_dword v[0:1], v7, off offset:896
	v_add_nc_u32_e32 v7, 0x700, v3
	v_pk_mul_f16 v9, v10, v9
	v_cvt_f16_i16_e32 v4, v21
	v_cvt_f16_i16_e32 v8, v8
	s_waitcnt lgkmcnt(2)
	v_ashrrev_i16 v10, 8, v48
	v_lshrrev_b32_e32 v7, 5, v7
	global_store_dword v[0:1], v9, off offset:640
	v_pack_b32_f16 v4, v5, v4
	v_mul_u32_u24_e32 v5, 0x10001, v57
	v_cvt_f16_i16_sdwa v9, sext(v47) dst_sel:DWORD dst_unused:UNUSED_PAD src0_sel:BYTE_0
	v_mad_u32_u24 v13, v7, 34, v2
	v_add_nc_u32_e32 v12, 0x780, v3
	v_mul_u32_u24_e32 v7, 34, v7
	v_pk_mul_f16 v4, v4, v5
	v_pack_b32_f16 v5, v9, v8
	v_cvt_f16_i16_e32 v9, v10
	v_add_nc_u32_e32 v10, 0x740, v3
	v_add_nc_u32_e32 v3, 0x7c0, v3
	ds_read_u16 v13, v13 offset:2
	v_lshrrev_b32_e32 v12, 5, v12
	v_cvt_f16_i16_sdwa v11, sext(v48) dst_sel:DWORD dst_unused:UNUSED_PAD src0_sel:BYTE_0
	v_lshrrev_b32_e32 v10, 5, v10
	v_lshrrev_b32_e32 v3, 5, v3
	v_mul_u32_u24_e32 v8, 0x10001, v58
	v_mul_u32_u24_e32 v15, 34, v12
	v_mad_u32_u24 v12, v12, 34, v2
	v_mul_u32_u24_e32 v14, 34, v10
	v_mad_u32_u24 v10, v10, 34, v2
	v_mad_u32_u24 v2, v3, 34, v2
	v_mul_u32_u24_e32 v16, 34, v3
	ds_read_u16 v3, v7
	ds_read_u16 v7, v14
	ds_read_u16 v10, v10 offset:2
	ds_read_u16 v14, v15
	ds_read_u16 v12, v12 offset:2
	;; [unrolled: 2-line block ×3, first 2 shown]
	v_pack_b32_f16 v9, v11, v9
	v_mul_u32_u24_e32 v11, 0x10001, v59
	s_waitcnt lgkmcnt(8)
	v_ashrrev_i16 v16, 8, v49
	global_store_dword v[0:1], v4, off offset:1024
	v_pk_mul_f16 v4, v5, v8
	v_mul_u32_u24_e32 v6, 0x10001, v6
	v_pk_mul_f16 v8, v9, v11
	s_waitcnt lgkmcnt(7)
	v_ashrrev_i16 v5, 8, v13
	v_cvt_f16_i16_e32 v9, v16
	v_cvt_f16_i16_sdwa v11, sext(v49) dst_sel:DWORD dst_unused:UNUSED_PAD src0_sel:BYTE_0
	global_store_dword v[0:1], v4, off offset:1152
	global_store_dword v[0:1], v8, off offset:1280
	v_cvt_f16_i16_e32 v4, v5
	v_cvt_f16_i16_sdwa v5, sext(v13) dst_sel:DWORD dst_unused:UNUSED_PAD src0_sel:BYTE_0
	v_pack_b32_f16 v8, v11, v9
	s_waitcnt lgkmcnt(4)
	v_ashrrev_i16 v9, 8, v10
	v_cvt_f16_i16_sdwa v10, sext(v10) dst_sel:DWORD dst_unused:UNUSED_PAD src0_sel:BYTE_0
	v_mul_u32_u24_e32 v3, 0x10001, v3
	v_pack_b32_f16 v4, v5, v4
	s_waitcnt lgkmcnt(2)
	v_ashrrev_i16 v5, 8, v12
	s_waitcnt lgkmcnt(0)
	v_ashrrev_i16 v11, 8, v2
	v_cvt_f16_i16_e32 v9, v9
	v_cvt_f16_i16_sdwa v12, sext(v12) dst_sel:DWORD dst_unused:UNUSED_PAD src0_sel:BYTE_0
	v_cvt_f16_i16_sdwa v2, sext(v2) dst_sel:DWORD dst_unused:UNUSED_PAD src0_sel:BYTE_0
	v_cvt_f16_i16_e32 v5, v5
	v_cvt_f16_i16_e32 v11, v11
	v_pack_b32_f16 v9, v10, v9
	v_mul_u32_u24_e32 v7, 0x10001, v7
	v_mul_u32_u24_e32 v10, 0x10001, v14
	v_pack_b32_f16 v5, v12, v5
	v_pack_b32_f16 v2, v2, v11
	v_mul_u32_u24_e32 v11, 0x10001, v15
	v_pk_mul_f16 v6, v8, v6
	v_pk_mul_f16 v3, v4, v3
	;; [unrolled: 1-line block ×5, first 2 shown]
	global_store_dword v[0:1], v6, off offset:1408
	global_store_dword v[0:1], v3, off offset:1536
	;; [unrolled: 1-line block ×5, first 2 shown]
	s_endpgm
	.section	.rodata,"a",@progbits
	.p2align	6, 0x0
	.amdhsa_kernel _ZL25dequantize_block_q8_0_f16ILb0EEvPKvP6__halfl
		.amdhsa_group_segment_fixed_size 2176
		.amdhsa_private_segment_fixed_size 0
		.amdhsa_kernarg_size 24
		.amdhsa_user_sgpr_count 6
		.amdhsa_user_sgpr_private_segment_buffer 1
		.amdhsa_user_sgpr_dispatch_ptr 0
		.amdhsa_user_sgpr_queue_ptr 0
		.amdhsa_user_sgpr_kernarg_segment_ptr 1
		.amdhsa_user_sgpr_dispatch_id 0
		.amdhsa_user_sgpr_flat_scratch_init 0
		.amdhsa_user_sgpr_private_segment_size 0
		.amdhsa_wavefront_size32 1
		.amdhsa_uses_dynamic_stack 0
		.amdhsa_system_sgpr_private_segment_wavefront_offset 0
		.amdhsa_system_sgpr_workgroup_id_x 1
		.amdhsa_system_sgpr_workgroup_id_y 0
		.amdhsa_system_sgpr_workgroup_id_z 0
		.amdhsa_system_sgpr_workgroup_info 0
		.amdhsa_system_vgpr_workitem_id 0
		.amdhsa_next_free_vgpr 60
		.amdhsa_next_free_sgpr 10
		.amdhsa_reserve_vcc 1
		.amdhsa_reserve_flat_scratch 0
		.amdhsa_float_round_mode_32 0
		.amdhsa_float_round_mode_16_64 0
		.amdhsa_float_denorm_mode_32 3
		.amdhsa_float_denorm_mode_16_64 3
		.amdhsa_dx10_clamp 1
		.amdhsa_ieee_mode 1
		.amdhsa_fp16_overflow 0
		.amdhsa_workgroup_processor_mode 1
		.amdhsa_memory_ordered 1
		.amdhsa_forward_progress 1
		.amdhsa_shared_vgpr_count 0
		.amdhsa_exception_fp_ieee_invalid_op 0
		.amdhsa_exception_fp_denorm_src 0
		.amdhsa_exception_fp_ieee_div_zero 0
		.amdhsa_exception_fp_ieee_overflow 0
		.amdhsa_exception_fp_ieee_underflow 0
		.amdhsa_exception_fp_ieee_inexact 0
		.amdhsa_exception_int_div_zero 0
	.end_amdhsa_kernel
	.section	.text._ZL25dequantize_block_q8_0_f16ILb0EEvPKvP6__halfl,"axG",@progbits,_ZL25dequantize_block_q8_0_f16ILb0EEvPKvP6__halfl,comdat
.Lfunc_end0:
	.size	_ZL25dequantize_block_q8_0_f16ILb0EEvPKvP6__halfl, .Lfunc_end0-_ZL25dequantize_block_q8_0_f16ILb0EEvPKvP6__halfl
                                        ; -- End function
	.set _ZL25dequantize_block_q8_0_f16ILb0EEvPKvP6__halfl.num_vgpr, 60
	.set _ZL25dequantize_block_q8_0_f16ILb0EEvPKvP6__halfl.num_agpr, 0
	.set _ZL25dequantize_block_q8_0_f16ILb0EEvPKvP6__halfl.numbered_sgpr, 10
	.set _ZL25dequantize_block_q8_0_f16ILb0EEvPKvP6__halfl.num_named_barrier, 0
	.set _ZL25dequantize_block_q8_0_f16ILb0EEvPKvP6__halfl.private_seg_size, 0
	.set _ZL25dequantize_block_q8_0_f16ILb0EEvPKvP6__halfl.uses_vcc, 1
	.set _ZL25dequantize_block_q8_0_f16ILb0EEvPKvP6__halfl.uses_flat_scratch, 0
	.set _ZL25dequantize_block_q8_0_f16ILb0EEvPKvP6__halfl.has_dyn_sized_stack, 0
	.set _ZL25dequantize_block_q8_0_f16ILb0EEvPKvP6__halfl.has_recursion, 0
	.set _ZL25dequantize_block_q8_0_f16ILb0EEvPKvP6__halfl.has_indirect_call, 0
	.section	.AMDGPU.csdata,"",@progbits
; Kernel info:
; codeLenInByte = 3480
; TotalNumSgprs: 12
; NumVgprs: 60
; ScratchSize: 0
; MemoryBound: 0
; FloatMode: 240
; IeeeMode: 1
; LDSByteSize: 2176 bytes/workgroup (compile time only)
; SGPRBlocks: 0
; VGPRBlocks: 7
; NumSGPRsForWavesPerEU: 12
; NumVGPRsForWavesPerEU: 60
; Occupancy: 16
; WaveLimiterHint : 1
; COMPUTE_PGM_RSRC2:SCRATCH_EN: 0
; COMPUTE_PGM_RSRC2:USER_SGPR: 6
; COMPUTE_PGM_RSRC2:TRAP_HANDLER: 0
; COMPUTE_PGM_RSRC2:TGID_X_EN: 1
; COMPUTE_PGM_RSRC2:TGID_Y_EN: 0
; COMPUTE_PGM_RSRC2:TGID_Z_EN: 0
; COMPUTE_PGM_RSRC2:TIDIG_COMP_CNT: 0
	.section	.text._ZL25dequantize_block_q8_0_f16ILb1EEvPKvP6__halfl,"axG",@progbits,_ZL25dequantize_block_q8_0_f16ILb1EEvPKvP6__halfl,comdat
	.globl	_ZL25dequantize_block_q8_0_f16ILb1EEvPKvP6__halfl ; -- Begin function _ZL25dequantize_block_q8_0_f16ILb1EEvPKvP6__halfl
	.p2align	8
	.type	_ZL25dequantize_block_q8_0_f16ILb1EEvPKvP6__halfl,@function
_ZL25dequantize_block_q8_0_f16ILb1EEvPKvP6__halfl: ; @_ZL25dequantize_block_q8_0_f16ILb1EEvPKvP6__halfl
; %bb.0:
	s_load_dwordx2 s[0:1], s[4:5], 0x10
	s_lshl_b32 s2, s6, 11
	v_lshlrev_b32_e32 v4, 2, v0
	s_mul_i32 s8, s6, 0x11000
	s_mul_hi_u32 s9, s2, 34
	s_mov_b32 s12, exec_lo
	s_lshr_b64 s[8:9], s[8:9], 5
	v_add_co_u32 v1, s10, s8, v4
	v_add_co_ci_u32_e64 v2, null, s9, 0, s10
	s_waitcnt lgkmcnt(0)
	s_mul_i32 s3, s1, 34
	s_mul_hi_u32 s7, s0, 34
	s_mul_i32 s10, s0, 34
	s_add_i32 s11, s7, s3
	s_mov_b32 s3, 0
	s_lshr_b64 s[10:11], s[10:11], 5
	v_cmpx_gt_u64_e64 s[10:11], v[1:2]
	s_cbranch_execz .LBB1_18
; %bb.1:
	s_load_dwordx2 s[14:15], s[4:5], 0x0
	s_mulk_i32 s6, 0x220
	s_mov_b32 s7, s3
	v_add_nc_u32_e32 v1, 0x80, v4
	s_lshl_b64 s[6:7], s[6:7], 2
	v_add_co_u32 v1, s13, s8, v1
	v_add_co_ci_u32_e64 v2, null, s9, 0, s13
	v_cmp_gt_u64_e32 vcc_lo, s[10:11], v[1:2]
	s_waitcnt lgkmcnt(0)
	s_add_u32 s6, s14, s6
	s_addc_u32 s7, s15, s7
	global_load_dword v3, v4, s[6:7]
	s_waitcnt vmcnt(0)
	ds_write_b32 v4, v3
	s_and_b32 exec_lo, exec_lo, vcc_lo
	s_cbranch_execz .LBB1_18
; %bb.2:
	v_add_co_u32 v1, s6, s6, v4
	v_add_co_ci_u32_e64 v2, null, s7, 0, s6
	v_lshl_add_u32 v5, v0, 2, 0x100
	global_load_dword v3, v[1:2], off offset:128
	v_add_co_u32 v5, s6, s8, v5
	v_add_co_ci_u32_e64 v6, null, s9, 0, s6
	v_cmp_gt_u64_e32 vcc_lo, s[10:11], v[5:6]
	s_waitcnt vmcnt(0)
	ds_write_b32 v4, v3 offset:128
	s_and_b32 exec_lo, exec_lo, vcc_lo
	s_cbranch_execz .LBB1_18
; %bb.3:
	global_load_dword v3, v[1:2], off offset:256
	v_lshl_add_u32 v5, v0, 2, 0x180
	v_add_co_u32 v5, s6, s8, v5
	v_add_co_ci_u32_e64 v6, null, s9, 0, s6
	v_cmp_gt_u64_e32 vcc_lo, s[10:11], v[5:6]
	s_waitcnt vmcnt(0)
	ds_write_b32 v4, v3 offset:256
	s_and_b32 exec_lo, exec_lo, vcc_lo
	s_cbranch_execz .LBB1_18
; %bb.4:
	global_load_dword v3, v[1:2], off offset:384
	v_lshl_add_u32 v5, v0, 2, 0x200
	;; [unrolled: 10-line block ×14, first 2 shown]
	v_add_co_u32 v5, s6, s8, v5
	v_add_co_ci_u32_e64 v6, null, s9, 0, s6
	v_cmp_gt_u64_e32 vcc_lo, s[10:11], v[5:6]
	s_waitcnt vmcnt(0)
	ds_write_b32 v4, v3 offset:1920
	s_and_b32 exec_lo, exec_lo, vcc_lo
	s_cbranch_execz .LBB1_18
; %bb.17:
	v_add_co_u32 v1, vcc_lo, 0x800, v1
	v_add_co_ci_u32_e64 v2, null, 0, v2, vcc_lo
	global_load_dword v1, v[1:2], off
	s_waitcnt vmcnt(0)
	ds_write_b32 v4, v1 offset:2048
.LBB1_18:
	s_or_b32 exec_lo, exec_lo, s12
	v_lshlrev_b32_e32 v2, 1, v0
	v_mov_b32_e32 v6, 0
	s_waitcnt lgkmcnt(0)
	s_barrier
	buffer_gl0_inv
	v_or_b32_e32 v5, s2, v2
	s_mov_b32 s6, exec_lo
	v_cmpx_gt_i64_e64 s[0:1], v[5:6]
	s_cbranch_execz .LBB1_51
; %bb.19:
	v_and_b32_e32 v1, 15, v0
	v_lshrrev_b32_e32 v0, 4, v0
	s_load_dwordx2 s[4:5], s[4:5], 0x8
	s_lshl_b64 s[6:7], s[2:3], 1
	v_lshlrev_b32_e32 v3, 1, v1
	v_mad_u32_u24 v1, v0, 34, v3
	v_mul_u32_u24_e32 v0, 34, v0
	ds_read_u16 v1, v1 offset:2
	ds_read_u16 v0, v0
	s_waitcnt lgkmcnt(0)
	s_add_u32 s4, s4, s6
	s_addc_u32 s5, s5, s7
	s_or_b32 s3, s2, 64
	v_ashrrev_i16 v5, 8, v1
	v_cvt_f16_i16_sdwa v1, sext(v1) dst_sel:DWORD dst_unused:UNUSED_PAD src0_sel:BYTE_0
	v_mul_u32_u24_e32 v6, 0x10001, v0
	v_add_co_u32 v0, s3, s3, v2
	v_cvt_f16_i16_e32 v5, v5
	v_pack_b32_f16 v5, v1, v5
	v_add_co_ci_u32_e64 v1, null, 0, 0, s3
	v_pk_mul_f16 v5, v5, v6
	v_cmp_gt_u64_e32 vcc_lo, s[0:1], v[0:1]
	global_store_dword v4, v5, s[4:5]
	s_and_b32 exec_lo, exec_lo, vcc_lo
	s_cbranch_execz .LBB1_51
; %bb.20:
	v_add_nc_u32_e32 v0, 64, v2
	s_or_b32 s3, s2, 0x80
	v_lshrrev_b32_e32 v0, 5, v0
	v_mad_u32_u24 v1, v0, 34, v3
	v_mul_u32_u24_e32 v0, 34, v0
	ds_read_u16 v1, v1 offset:2
	ds_read_u16 v0, v0
	s_waitcnt lgkmcnt(1)
	v_ashrrev_i16 v5, 8, v1
	v_cvt_f16_i16_sdwa v1, sext(v1) dst_sel:DWORD dst_unused:UNUSED_PAD src0_sel:BYTE_0
	s_waitcnt lgkmcnt(0)
	v_mul_u32_u24_e32 v8, 0x10001, v0
	v_cvt_f16_i16_e32 v7, v5
	v_add_co_u32 v5, s3, s3, v2
	v_add_co_ci_u32_e64 v6, null, 0, 0, s3
	v_pack_b32_f16 v7, v1, v7
	v_add_co_u32 v0, s3, s4, v4
	v_cmp_gt_u64_e32 vcc_lo, s[0:1], v[5:6]
	v_add_co_ci_u32_e64 v1, null, s5, 0, s3
	v_pk_mul_f16 v4, v7, v8
	global_store_dword v[0:1], v4, off offset:128
	s_and_b32 exec_lo, exec_lo, vcc_lo
	s_cbranch_execz .LBB1_51
; %bb.21:
	v_add_nc_u32_e32 v4, 0x80, v2
	s_or_b32 s3, s2, 0xc0
	v_lshrrev_b32_e32 v4, 5, v4
	v_mad_u32_u24 v5, v4, 34, v3
	v_mul_u32_u24_e32 v4, 34, v4
	ds_read_u16 v5, v5 offset:2
	ds_read_u16 v4, v4
	s_waitcnt lgkmcnt(1)
	v_ashrrev_i16 v6, 8, v5
	v_cvt_f16_i16_sdwa v5, sext(v5) dst_sel:DWORD dst_unused:UNUSED_PAD src0_sel:BYTE_0
	s_waitcnt lgkmcnt(0)
	v_mul_u32_u24_e32 v7, 0x10001, v4
	v_add_co_u32 v4, s3, s3, v2
	v_cvt_f16_i16_e32 v6, v6
	v_pack_b32_f16 v6, v5, v6
	v_add_co_ci_u32_e64 v5, null, 0, 0, s3
	v_pk_mul_f16 v6, v6, v7
	v_cmp_gt_u64_e32 vcc_lo, s[0:1], v[4:5]
	global_store_dword v[0:1], v6, off offset:256
	s_and_b32 exec_lo, exec_lo, vcc_lo
	s_cbranch_execz .LBB1_51
; %bb.22:
	v_add_nc_u32_e32 v4, 0xc0, v2
	s_or_b32 s3, s2, 0x100
	v_lshrrev_b32_e32 v4, 5, v4
	v_mad_u32_u24 v5, v4, 34, v3
	v_mul_u32_u24_e32 v4, 34, v4
	ds_read_u16 v5, v5 offset:2
	ds_read_u16 v4, v4
	s_waitcnt lgkmcnt(1)
	v_ashrrev_i16 v6, 8, v5
	v_cvt_f16_i16_sdwa v5, sext(v5) dst_sel:DWORD dst_unused:UNUSED_PAD src0_sel:BYTE_0
	s_waitcnt lgkmcnt(0)
	v_mul_u32_u24_e32 v7, 0x10001, v4
	v_add_co_u32 v4, s3, s3, v2
	v_cvt_f16_i16_e32 v6, v6
	v_pack_b32_f16 v6, v5, v6
	v_add_co_ci_u32_e64 v5, null, 0, 0, s3
	v_pk_mul_f16 v6, v6, v7
	v_cmp_gt_u64_e32 vcc_lo, s[0:1], v[4:5]
	;; [unrolled: 22-line block ×14, first 2 shown]
	global_store_dword v[0:1], v6, off offset:1920
	s_and_b32 exec_lo, exec_lo, vcc_lo
	s_cbranch_execz .LBB1_51
; %bb.35:
	v_add_nc_u32_e32 v4, 0x400, v2
	s_or_b32 s3, s2, 0x440
	v_add_co_u32 v0, vcc_lo, 0x800, v0
	v_add_co_ci_u32_e64 v1, null, 0, v1, vcc_lo
	v_lshrrev_b32_e32 v4, 5, v4
	v_mad_u32_u24 v5, v4, 34, v3
	v_mul_u32_u24_e32 v4, 34, v4
	ds_read_u16 v5, v5 offset:2
	ds_read_u16 v6, v4
	s_waitcnt lgkmcnt(1)
	v_ashrrev_i16 v4, 8, v5
	v_cvt_f16_i16_sdwa v7, sext(v5) dst_sel:DWORD dst_unused:UNUSED_PAD src0_sel:BYTE_0
	s_waitcnt lgkmcnt(0)
	v_mul_u32_u24_e32 v6, 0x10001, v6
	v_cvt_f16_i16_e32 v8, v4
	v_add_co_u32 v4, s3, s3, v2
	v_add_co_ci_u32_e64 v5, null, 0, 0, s3
	v_pack_b32_f16 v7, v7, v8
	v_cmp_gt_u64_e32 vcc_lo, s[0:1], v[4:5]
	v_pk_mul_f16 v6, v7, v6
	global_store_dword v[0:1], v6, off
	s_and_b32 exec_lo, exec_lo, vcc_lo
	s_cbranch_execz .LBB1_51
; %bb.36:
	v_add_nc_u32_e32 v4, 0x440, v2
	s_or_b32 s3, s2, 0x480
	v_lshrrev_b32_e32 v4, 5, v4
	v_mad_u32_u24 v5, v4, 34, v3
	v_mul_u32_u24_e32 v4, 34, v4
	ds_read_u16 v5, v5 offset:2
	ds_read_u16 v4, v4
	s_waitcnt lgkmcnt(1)
	v_ashrrev_i16 v6, 8, v5
	v_cvt_f16_i16_sdwa v5, sext(v5) dst_sel:DWORD dst_unused:UNUSED_PAD src0_sel:BYTE_0
	s_waitcnt lgkmcnt(0)
	v_mul_u32_u24_e32 v7, 0x10001, v4
	v_add_co_u32 v4, s3, s3, v2
	v_cvt_f16_i16_e32 v6, v6
	v_pack_b32_f16 v6, v5, v6
	v_add_co_ci_u32_e64 v5, null, 0, 0, s3
	v_pk_mul_f16 v6, v6, v7
	v_cmp_gt_u64_e32 vcc_lo, s[0:1], v[4:5]
	global_store_dword v[0:1], v6, off offset:128
	s_and_b32 exec_lo, exec_lo, vcc_lo
	s_cbranch_execz .LBB1_51
; %bb.37:
	v_add_nc_u32_e32 v4, 0x480, v2
	s_or_b32 s3, s2, 0x4c0
	v_lshrrev_b32_e32 v4, 5, v4
	v_mad_u32_u24 v5, v4, 34, v3
	v_mul_u32_u24_e32 v4, 34, v4
	ds_read_u16 v5, v5 offset:2
	ds_read_u16 v4, v4
	s_waitcnt lgkmcnt(1)
	v_ashrrev_i16 v6, 8, v5
	v_cvt_f16_i16_sdwa v5, sext(v5) dst_sel:DWORD dst_unused:UNUSED_PAD src0_sel:BYTE_0
	s_waitcnt lgkmcnt(0)
	v_mul_u32_u24_e32 v7, 0x10001, v4
	v_add_co_u32 v4, s3, s3, v2
	v_cvt_f16_i16_e32 v6, v6
	v_pack_b32_f16 v6, v5, v6
	v_add_co_ci_u32_e64 v5, null, 0, 0, s3
	v_pk_mul_f16 v6, v6, v7
	v_cmp_gt_u64_e32 vcc_lo, s[0:1], v[4:5]
	global_store_dword v[0:1], v6, off offset:256
	;; [unrolled: 22-line block ×14, first 2 shown]
	s_and_b32 exec_lo, exec_lo, vcc_lo
	s_cbranch_execz .LBB1_51
; %bb.50:
	v_add_nc_u32_e32 v2, 0x7c0, v2
	v_lshrrev_b32_e32 v2, 5, v2
	v_mad_u32_u24 v3, v2, 34, v3
	v_mul_u32_u24_e32 v2, 34, v2
	ds_read_u16 v3, v3 offset:2
	ds_read_u16 v2, v2
	s_waitcnt lgkmcnt(1)
	v_ashrrev_i16 v4, 8, v3
	v_cvt_f16_i16_sdwa v3, sext(v3) dst_sel:DWORD dst_unused:UNUSED_PAD src0_sel:BYTE_0
	s_waitcnt lgkmcnt(0)
	v_mul_u32_u24_e32 v2, 0x10001, v2
	v_cvt_f16_i16_e32 v4, v4
	v_pack_b32_f16 v3, v3, v4
	v_pk_mul_f16 v2, v3, v2
	global_store_dword v[0:1], v2, off offset:1920
.LBB1_51:
	s_endpgm
	.section	.rodata,"a",@progbits
	.p2align	6, 0x0
	.amdhsa_kernel _ZL25dequantize_block_q8_0_f16ILb1EEvPKvP6__halfl
		.amdhsa_group_segment_fixed_size 2176
		.amdhsa_private_segment_fixed_size 0
		.amdhsa_kernarg_size 24
		.amdhsa_user_sgpr_count 6
		.amdhsa_user_sgpr_private_segment_buffer 1
		.amdhsa_user_sgpr_dispatch_ptr 0
		.amdhsa_user_sgpr_queue_ptr 0
		.amdhsa_user_sgpr_kernarg_segment_ptr 1
		.amdhsa_user_sgpr_dispatch_id 0
		.amdhsa_user_sgpr_flat_scratch_init 0
		.amdhsa_user_sgpr_private_segment_size 0
		.amdhsa_wavefront_size32 1
		.amdhsa_uses_dynamic_stack 0
		.amdhsa_system_sgpr_private_segment_wavefront_offset 0
		.amdhsa_system_sgpr_workgroup_id_x 1
		.amdhsa_system_sgpr_workgroup_id_y 0
		.amdhsa_system_sgpr_workgroup_id_z 0
		.amdhsa_system_sgpr_workgroup_info 0
		.amdhsa_system_vgpr_workitem_id 0
		.amdhsa_next_free_vgpr 9
		.amdhsa_next_free_sgpr 16
		.amdhsa_reserve_vcc 1
		.amdhsa_reserve_flat_scratch 0
		.amdhsa_float_round_mode_32 0
		.amdhsa_float_round_mode_16_64 0
		.amdhsa_float_denorm_mode_32 3
		.amdhsa_float_denorm_mode_16_64 3
		.amdhsa_dx10_clamp 1
		.amdhsa_ieee_mode 1
		.amdhsa_fp16_overflow 0
		.amdhsa_workgroup_processor_mode 1
		.amdhsa_memory_ordered 1
		.amdhsa_forward_progress 1
		.amdhsa_shared_vgpr_count 0
		.amdhsa_exception_fp_ieee_invalid_op 0
		.amdhsa_exception_fp_denorm_src 0
		.amdhsa_exception_fp_ieee_div_zero 0
		.amdhsa_exception_fp_ieee_overflow 0
		.amdhsa_exception_fp_ieee_underflow 0
		.amdhsa_exception_fp_ieee_inexact 0
		.amdhsa_exception_int_div_zero 0
	.end_amdhsa_kernel
	.section	.text._ZL25dequantize_block_q8_0_f16ILb1EEvPKvP6__halfl,"axG",@progbits,_ZL25dequantize_block_q8_0_f16ILb1EEvPKvP6__halfl,comdat
.Lfunc_end1:
	.size	_ZL25dequantize_block_q8_0_f16ILb1EEvPKvP6__halfl, .Lfunc_end1-_ZL25dequantize_block_q8_0_f16ILb1EEvPKvP6__halfl
                                        ; -- End function
	.set _ZL25dequantize_block_q8_0_f16ILb1EEvPKvP6__halfl.num_vgpr, 9
	.set _ZL25dequantize_block_q8_0_f16ILb1EEvPKvP6__halfl.num_agpr, 0
	.set _ZL25dequantize_block_q8_0_f16ILb1EEvPKvP6__halfl.numbered_sgpr, 16
	.set _ZL25dequantize_block_q8_0_f16ILb1EEvPKvP6__halfl.num_named_barrier, 0
	.set _ZL25dequantize_block_q8_0_f16ILb1EEvPKvP6__halfl.private_seg_size, 0
	.set _ZL25dequantize_block_q8_0_f16ILb1EEvPKvP6__halfl.uses_vcc, 1
	.set _ZL25dequantize_block_q8_0_f16ILb1EEvPKvP6__halfl.uses_flat_scratch, 0
	.set _ZL25dequantize_block_q8_0_f16ILb1EEvPKvP6__halfl.has_dyn_sized_stack, 0
	.set _ZL25dequantize_block_q8_0_f16ILb1EEvPKvP6__halfl.has_recursion, 0
	.set _ZL25dequantize_block_q8_0_f16ILb1EEvPKvP6__halfl.has_indirect_call, 0
	.section	.AMDGPU.csdata,"",@progbits
; Kernel info:
; codeLenInByte = 5548
; TotalNumSgprs: 18
; NumVgprs: 9
; ScratchSize: 0
; MemoryBound: 0
; FloatMode: 240
; IeeeMode: 1
; LDSByteSize: 2176 bytes/workgroup (compile time only)
; SGPRBlocks: 0
; VGPRBlocks: 1
; NumSGPRsForWavesPerEU: 18
; NumVGPRsForWavesPerEU: 9
; Occupancy: 16
; WaveLimiterHint : 0
; COMPUTE_PGM_RSRC2:SCRATCH_EN: 0
; COMPUTE_PGM_RSRC2:USER_SGPR: 6
; COMPUTE_PGM_RSRC2:TRAP_HANDLER: 0
; COMPUTE_PGM_RSRC2:TGID_X_EN: 1
; COMPUTE_PGM_RSRC2:TGID_Y_EN: 0
; COMPUTE_PGM_RSRC2:TGID_Z_EN: 0
; COMPUTE_PGM_RSRC2:TIDIG_COMP_CNT: 0
	.section	.text._ZL21dequantize_block_q4_0I6__halfEvPKvPT_i,"axG",@progbits,_ZL21dequantize_block_q4_0I6__halfEvPKvPT_i,comdat
	.globl	_ZL21dequantize_block_q4_0I6__halfEvPKvPT_i ; -- Begin function _ZL21dequantize_block_q4_0I6__halfEvPKvPT_i
	.p2align	8
	.type	_ZL21dequantize_block_q4_0I6__halfEvPKvPT_i,@function
_ZL21dequantize_block_q4_0I6__halfEvPKvPT_i: ; @_ZL21dequantize_block_q4_0I6__halfEvPKvPT_i
; %bb.0:
	s_load_dword s0, s[4:5], 0x10
	v_and_b32_e32 v3, 7, v0
	s_mov_b32 s7, 0
	s_lshl_b64 s[2:3], s[6:7], 3
	v_mov_b32_e32 v2, s3
	v_or_b32_e32 v1, s2, v3
	s_waitcnt lgkmcnt(0)
	s_ashr_i32 s1, s0, 31
	v_cmp_gt_i64_e32 vcc_lo, s[0:1], v[1:2]
	s_and_saveexec_b32 s0, vcc_lo
	s_cbranch_execz .LBB2_2
; %bb.1:
	s_load_dwordx4 s[0:3], s[4:5], 0x0
	v_lshrrev_b32_e32 v0, 1, v0
	s_waitcnt lgkmcnt(0)
	v_mad_u64_u32 v[4:5], null, v1, 18, s[0:1]
	s_lshl_b64 s[0:1], s[6:7], 9
	s_add_u32 s0, s2, s0
	s_addc_u32 s1, s3, s1
	v_mad_u32_u24 v5, v2, 18, v5
	v_and_b32_e32 v2, 0x1fc, v0
	global_load_ushort v6, v[4:5], off
	v_add_co_u32 v0, vcc_lo, v4, v2
	v_add_co_ci_u32_e64 v1, null, 0, v5, vcc_lo
	global_load_dword v0, v[0:1], off offset:2
	v_lshlrev_b32_e32 v1, 6, v3
	v_lshlrev_b32_e32 v4, 1, v2
	v_add_co_u32 v5, s0, s0, v1
	v_add_co_ci_u32_e64 v7, null, s1, 0, s0
	v_add_co_u32 v4, vcc_lo, v5, v4
	v_add_co_ci_u32_e64 v5, null, 0, v7, vcc_lo
	s_waitcnt vmcnt(1)
	v_cvt_f32_f16_e32 v2, v6
	v_mul_f32_e32 v8, 0xc1000000, v2
	s_waitcnt vmcnt(0)
	v_lshrrev_b32_e32 v1, 8, v0
	v_lshrrev_b16 v9, 4, v0
	v_and_b32_e32 v3, 15, v0
	v_bfe_u32 v11, v0, 16, 4
	v_lshrrev_b32_e32 v2, 24, v0
	v_bfe_u32 v12, v0, 20, 4
	v_and_b32_e32 v9, 15, v9
	v_lshrrev_b16 v1, 4, v1
	v_bfe_u32 v10, v0, 8, 4
	v_bfe_u32 v0, v0, 24, 4
	v_cvt_f32_ubyte0_e32 v3, v3
	v_cvt_f32_ubyte0_e32 v11, v11
	;; [unrolled: 1-line block ×3, first 2 shown]
	v_lshrrev_b16 v2, 4, v2
	v_cvt_f32_ubyte0_e32 v9, v9
	v_and_b32_e32 v14, 15, v1
	v_cvt_f32_ubyte0_e32 v10, v10
	v_cvt_f32_ubyte0_e32 v13, v0
	v_fma_mixlo_f16 v0, v6, v3, v8 op_sel_hi:[1,0,0]
	v_fma_mixlo_f16 v1, v6, v11, v8 op_sel_hi:[1,0,0]
	;; [unrolled: 1-line block ×3, first 2 shown]
	v_cvt_f32_ubyte0_e32 v11, v2
	v_fma_mixlo_f16 v2, v6, v9, v8 op_sel_hi:[1,0,0]
	v_cvt_f32_ubyte0_e32 v9, v14
	v_fma_mixhi_f16 v1, v6, v13, v8 op_sel_hi:[1,0,0]
	v_fma_mixhi_f16 v0, v6, v10, v8 op_sel_hi:[1,0,0]
	;; [unrolled: 1-line block ×4, first 2 shown]
	global_store_dwordx2 v[4:5], v[0:1], off
	global_store_dwordx2 v[4:5], v[2:3], off offset:32
.LBB2_2:
	s_endpgm
	.section	.rodata,"a",@progbits
	.p2align	6, 0x0
	.amdhsa_kernel _ZL21dequantize_block_q4_0I6__halfEvPKvPT_i
		.amdhsa_group_segment_fixed_size 0
		.amdhsa_private_segment_fixed_size 0
		.amdhsa_kernarg_size 20
		.amdhsa_user_sgpr_count 6
		.amdhsa_user_sgpr_private_segment_buffer 1
		.amdhsa_user_sgpr_dispatch_ptr 0
		.amdhsa_user_sgpr_queue_ptr 0
		.amdhsa_user_sgpr_kernarg_segment_ptr 1
		.amdhsa_user_sgpr_dispatch_id 0
		.amdhsa_user_sgpr_flat_scratch_init 0
		.amdhsa_user_sgpr_private_segment_size 0
		.amdhsa_wavefront_size32 1
		.amdhsa_uses_dynamic_stack 0
		.amdhsa_system_sgpr_private_segment_wavefront_offset 0
		.amdhsa_system_sgpr_workgroup_id_x 1
		.amdhsa_system_sgpr_workgroup_id_y 0
		.amdhsa_system_sgpr_workgroup_id_z 0
		.amdhsa_system_sgpr_workgroup_info 0
		.amdhsa_system_vgpr_workitem_id 0
		.amdhsa_next_free_vgpr 15
		.amdhsa_next_free_sgpr 8
		.amdhsa_reserve_vcc 1
		.amdhsa_reserve_flat_scratch 0
		.amdhsa_float_round_mode_32 0
		.amdhsa_float_round_mode_16_64 0
		.amdhsa_float_denorm_mode_32 3
		.amdhsa_float_denorm_mode_16_64 3
		.amdhsa_dx10_clamp 1
		.amdhsa_ieee_mode 1
		.amdhsa_fp16_overflow 0
		.amdhsa_workgroup_processor_mode 1
		.amdhsa_memory_ordered 1
		.amdhsa_forward_progress 1
		.amdhsa_shared_vgpr_count 0
		.amdhsa_exception_fp_ieee_invalid_op 0
		.amdhsa_exception_fp_denorm_src 0
		.amdhsa_exception_fp_ieee_div_zero 0
		.amdhsa_exception_fp_ieee_overflow 0
		.amdhsa_exception_fp_ieee_underflow 0
		.amdhsa_exception_fp_ieee_inexact 0
		.amdhsa_exception_int_div_zero 0
	.end_amdhsa_kernel
	.section	.text._ZL21dequantize_block_q4_0I6__halfEvPKvPT_i,"axG",@progbits,_ZL21dequantize_block_q4_0I6__halfEvPKvPT_i,comdat
.Lfunc_end2:
	.size	_ZL21dequantize_block_q4_0I6__halfEvPKvPT_i, .Lfunc_end2-_ZL21dequantize_block_q4_0I6__halfEvPKvPT_i
                                        ; -- End function
	.set _ZL21dequantize_block_q4_0I6__halfEvPKvPT_i.num_vgpr, 15
	.set _ZL21dequantize_block_q4_0I6__halfEvPKvPT_i.num_agpr, 0
	.set _ZL21dequantize_block_q4_0I6__halfEvPKvPT_i.numbered_sgpr, 8
	.set _ZL21dequantize_block_q4_0I6__halfEvPKvPT_i.num_named_barrier, 0
	.set _ZL21dequantize_block_q4_0I6__halfEvPKvPT_i.private_seg_size, 0
	.set _ZL21dequantize_block_q4_0I6__halfEvPKvPT_i.uses_vcc, 1
	.set _ZL21dequantize_block_q4_0I6__halfEvPKvPT_i.uses_flat_scratch, 0
	.set _ZL21dequantize_block_q4_0I6__halfEvPKvPT_i.has_dyn_sized_stack, 0
	.set _ZL21dequantize_block_q4_0I6__halfEvPKvPT_i.has_recursion, 0
	.set _ZL21dequantize_block_q4_0I6__halfEvPKvPT_i.has_indirect_call, 0
	.section	.AMDGPU.csdata,"",@progbits
; Kernel info:
; codeLenInByte = 384
; TotalNumSgprs: 10
; NumVgprs: 15
; ScratchSize: 0
; MemoryBound: 0
; FloatMode: 240
; IeeeMode: 1
; LDSByteSize: 0 bytes/workgroup (compile time only)
; SGPRBlocks: 0
; VGPRBlocks: 1
; NumSGPRsForWavesPerEU: 10
; NumVGPRsForWavesPerEU: 15
; Occupancy: 16
; WaveLimiterHint : 0
; COMPUTE_PGM_RSRC2:SCRATCH_EN: 0
; COMPUTE_PGM_RSRC2:USER_SGPR: 6
; COMPUTE_PGM_RSRC2:TRAP_HANDLER: 0
; COMPUTE_PGM_RSRC2:TGID_X_EN: 1
; COMPUTE_PGM_RSRC2:TGID_Y_EN: 0
; COMPUTE_PGM_RSRC2:TGID_Z_EN: 0
; COMPUTE_PGM_RSRC2:TIDIG_COMP_CNT: 0
	.section	.text._ZL21dequantize_block_q4_1I6__halfEvPKvPT_i,"axG",@progbits,_ZL21dequantize_block_q4_1I6__halfEvPKvPT_i,comdat
	.globl	_ZL21dequantize_block_q4_1I6__halfEvPKvPT_i ; -- Begin function _ZL21dequantize_block_q4_1I6__halfEvPKvPT_i
	.p2align	8
	.type	_ZL21dequantize_block_q4_1I6__halfEvPKvPT_i,@function
_ZL21dequantize_block_q4_1I6__halfEvPKvPT_i: ; @_ZL21dequantize_block_q4_1I6__halfEvPKvPT_i
; %bb.0:
	s_load_dword s0, s[4:5], 0x10
	v_and_b32_e32 v3, 7, v0
	s_mov_b32 s7, 0
	s_lshl_b64 s[2:3], s[6:7], 3
	v_mov_b32_e32 v2, s3
	v_or_b32_e32 v1, s2, v3
	s_waitcnt lgkmcnt(0)
	s_ashr_i32 s1, s0, 31
	v_cmp_gt_i64_e32 vcc_lo, s[0:1], v[1:2]
	s_and_saveexec_b32 s0, vcc_lo
	s_cbranch_execz .LBB3_2
; %bb.1:
	s_load_dwordx4 s[0:3], s[4:5], 0x0
	v_lshrrev_b32_e32 v0, 1, v0
	v_and_b32_e32 v6, 0x1fc, v0
	s_waitcnt lgkmcnt(0)
	v_mad_u64_u32 v[4:5], null, v1, 20, s[0:1]
	s_lshl_b64 s[0:1], s[6:7], 9
	s_add_u32 s0, s2, s0
	s_addc_u32 s1, s3, s1
	v_mad_u32_u24 v5, v2, 20, v5
	v_add_co_u32 v0, vcc_lo, v4, v6
	v_add_co_ci_u32_e64 v1, null, 0, v5, vcc_lo
	s_clause 0x1
	global_load_dword v0, v[0:1], off offset:4
	global_load_dword v7, v[4:5], off
	v_lshlrev_b32_e32 v1, 6, v3
	v_lshlrev_b32_e32 v4, 1, v6
	v_add_co_u32 v5, s0, s0, v1
	v_add_co_ci_u32_e64 v6, null, s1, 0, s0
	v_add_co_u32 v4, vcc_lo, v5, v4
	v_add_co_ci_u32_e64 v5, null, 0, v6, vcc_lo
	s_waitcnt vmcnt(1)
	v_lshrrev_b32_e32 v1, 8, v0
	v_lshrrev_b16 v8, 4, v0
	v_and_b32_e32 v3, 15, v0
	v_bfe_u32 v10, v0, 16, 4
	v_lshrrev_b32_e32 v2, 24, v0
	v_bfe_u32 v11, v0, 20, 4
	v_and_b32_e32 v8, 15, v8
	v_lshrrev_b16 v1, 4, v1
	v_bfe_u32 v9, v0, 8, 4
	v_bfe_u32 v0, v0, 24, 4
	v_cvt_f32_ubyte0_e32 v3, v3
	v_cvt_f32_ubyte0_e32 v10, v10
	;; [unrolled: 1-line block ×3, first 2 shown]
	v_lshrrev_b16 v2, 4, v2
	v_cvt_f32_ubyte0_e32 v8, v8
	v_and_b32_e32 v13, 15, v1
	v_cvt_f32_ubyte0_e32 v9, v9
	v_cvt_f32_ubyte0_e32 v12, v0
	s_waitcnt vmcnt(0)
	v_fma_mixlo_f16 v0, v7, v3, v7 op_sel:[0,0,1] op_sel_hi:[1,0,1]
	v_fma_mixlo_f16 v1, v7, v10, v7 op_sel:[0,0,1] op_sel_hi:[1,0,1]
	;; [unrolled: 1-line block ×3, first 2 shown]
	v_cvt_f32_ubyte0_e32 v10, v2
	v_fma_mixlo_f16 v2, v7, v8, v7 op_sel:[0,0,1] op_sel_hi:[1,0,1]
	v_cvt_f32_ubyte0_e32 v8, v13
	v_fma_mixhi_f16 v1, v7, v12, v7 op_sel:[0,0,1] op_sel_hi:[1,0,1]
	v_fma_mixhi_f16 v0, v7, v9, v7 op_sel:[0,0,1] op_sel_hi:[1,0,1]
	;; [unrolled: 1-line block ×4, first 2 shown]
	global_store_dwordx2 v[4:5], v[0:1], off
	global_store_dwordx2 v[4:5], v[2:3], off offset:32
.LBB3_2:
	s_endpgm
	.section	.rodata,"a",@progbits
	.p2align	6, 0x0
	.amdhsa_kernel _ZL21dequantize_block_q4_1I6__halfEvPKvPT_i
		.amdhsa_group_segment_fixed_size 0
		.amdhsa_private_segment_fixed_size 0
		.amdhsa_kernarg_size 20
		.amdhsa_user_sgpr_count 6
		.amdhsa_user_sgpr_private_segment_buffer 1
		.amdhsa_user_sgpr_dispatch_ptr 0
		.amdhsa_user_sgpr_queue_ptr 0
		.amdhsa_user_sgpr_kernarg_segment_ptr 1
		.amdhsa_user_sgpr_dispatch_id 0
		.amdhsa_user_sgpr_flat_scratch_init 0
		.amdhsa_user_sgpr_private_segment_size 0
		.amdhsa_wavefront_size32 1
		.amdhsa_uses_dynamic_stack 0
		.amdhsa_system_sgpr_private_segment_wavefront_offset 0
		.amdhsa_system_sgpr_workgroup_id_x 1
		.amdhsa_system_sgpr_workgroup_id_y 0
		.amdhsa_system_sgpr_workgroup_id_z 0
		.amdhsa_system_sgpr_workgroup_info 0
		.amdhsa_system_vgpr_workitem_id 0
		.amdhsa_next_free_vgpr 14
		.amdhsa_next_free_sgpr 8
		.amdhsa_reserve_vcc 1
		.amdhsa_reserve_flat_scratch 0
		.amdhsa_float_round_mode_32 0
		.amdhsa_float_round_mode_16_64 0
		.amdhsa_float_denorm_mode_32 3
		.amdhsa_float_denorm_mode_16_64 3
		.amdhsa_dx10_clamp 1
		.amdhsa_ieee_mode 1
		.amdhsa_fp16_overflow 0
		.amdhsa_workgroup_processor_mode 1
		.amdhsa_memory_ordered 1
		.amdhsa_forward_progress 1
		.amdhsa_shared_vgpr_count 0
		.amdhsa_exception_fp_ieee_invalid_op 0
		.amdhsa_exception_fp_denorm_src 0
		.amdhsa_exception_fp_ieee_div_zero 0
		.amdhsa_exception_fp_ieee_overflow 0
		.amdhsa_exception_fp_ieee_underflow 0
		.amdhsa_exception_fp_ieee_inexact 0
		.amdhsa_exception_int_div_zero 0
	.end_amdhsa_kernel
	.section	.text._ZL21dequantize_block_q4_1I6__halfEvPKvPT_i,"axG",@progbits,_ZL21dequantize_block_q4_1I6__halfEvPKvPT_i,comdat
.Lfunc_end3:
	.size	_ZL21dequantize_block_q4_1I6__halfEvPKvPT_i, .Lfunc_end3-_ZL21dequantize_block_q4_1I6__halfEvPKvPT_i
                                        ; -- End function
	.set _ZL21dequantize_block_q4_1I6__halfEvPKvPT_i.num_vgpr, 14
	.set _ZL21dequantize_block_q4_1I6__halfEvPKvPT_i.num_agpr, 0
	.set _ZL21dequantize_block_q4_1I6__halfEvPKvPT_i.numbered_sgpr, 8
	.set _ZL21dequantize_block_q4_1I6__halfEvPKvPT_i.num_named_barrier, 0
	.set _ZL21dequantize_block_q4_1I6__halfEvPKvPT_i.private_seg_size, 0
	.set _ZL21dequantize_block_q4_1I6__halfEvPKvPT_i.uses_vcc, 1
	.set _ZL21dequantize_block_q4_1I6__halfEvPKvPT_i.uses_flat_scratch, 0
	.set _ZL21dequantize_block_q4_1I6__halfEvPKvPT_i.has_dyn_sized_stack, 0
	.set _ZL21dequantize_block_q4_1I6__halfEvPKvPT_i.has_recursion, 0
	.set _ZL21dequantize_block_q4_1I6__halfEvPKvPT_i.has_indirect_call, 0
	.section	.AMDGPU.csdata,"",@progbits
; Kernel info:
; codeLenInByte = 376
; TotalNumSgprs: 10
; NumVgprs: 14
; ScratchSize: 0
; MemoryBound: 0
; FloatMode: 240
; IeeeMode: 1
; LDSByteSize: 0 bytes/workgroup (compile time only)
; SGPRBlocks: 0
; VGPRBlocks: 1
; NumSGPRsForWavesPerEU: 10
; NumVGPRsForWavesPerEU: 14
; Occupancy: 16
; WaveLimiterHint : 0
; COMPUTE_PGM_RSRC2:SCRATCH_EN: 0
; COMPUTE_PGM_RSRC2:USER_SGPR: 6
; COMPUTE_PGM_RSRC2:TRAP_HANDLER: 0
; COMPUTE_PGM_RSRC2:TGID_X_EN: 1
; COMPUTE_PGM_RSRC2:TGID_Y_EN: 0
; COMPUTE_PGM_RSRC2:TGID_Z_EN: 0
; COMPUTE_PGM_RSRC2:TIDIG_COMP_CNT: 0
	.section	.text._ZL21dequantize_block_q2_KI6__halfEvPKvPT_,"axG",@progbits,_ZL21dequantize_block_q2_KI6__halfEvPKvPT_,comdat
	.globl	_ZL21dequantize_block_q2_KI6__halfEvPKvPT_ ; -- Begin function _ZL21dequantize_block_q2_KI6__halfEvPKvPT_
	.p2align	8
	.type	_ZL21dequantize_block_q2_KI6__halfEvPKvPT_,@function
_ZL21dequantize_block_q2_KI6__halfEvPKvPT_: ; @_ZL21dequantize_block_q2_KI6__halfEvPKvPT_
; %bb.0:
	s_load_dwordx4 s[0:3], s[4:5], 0x0
	v_lshrrev_b32_e32 v3, 5, v0
	s_mul_i32 s5, s6, 0x54
	s_mul_hi_u32 s4, s6, 0x54
	v_bfe_u32 v2, v0, 4, 1
	s_mov_b32 s7, 0
	v_lshlrev_b32_e32 v1, 3, v3
	s_waitcnt lgkmcnt(0)
	s_add_u32 s0, s0, s5
	s_addc_u32 s1, s1, s4
	v_add_co_u32 v1, s4, s0, v1
	v_add_co_ci_u32_e64 v4, null, s1, 0, s4
	global_load_ubyte v5, v0, s[0:1] offset:16
	v_add_co_u32 v1, vcc_lo, v1, v2
	v_add_co_ci_u32_e64 v2, null, 0, v4, vcc_lo
	v_and_b32_e32 v0, 31, v0
	s_clause 0x3
	global_load_ubyte v4, v[1:2], off
	global_load_ubyte v6, v[1:2], off offset:2
	global_load_ubyte v7, v[1:2], off offset:4
	;; [unrolled: 1-line block ×3, first 2 shown]
	s_load_dword s4, s[0:1], 0x50
	v_lshlrev_b32_e32 v2, 8, v3
	s_lshl_b64 s[0:1], s[6:7], 9
	v_lshlrev_b32_e32 v0, 1, v0
	s_add_u32 s0, s2, s0
	s_addc_u32 s1, s3, s1
	v_add_co_u32 v2, s0, s0, v2
	v_add_co_ci_u32_e64 v3, null, s1, 0, s0
	v_add_co_u32 v0, vcc_lo, v2, v0
	s_waitcnt lgkmcnt(0)
	s_lshr_b32 s0, s4, 16
	v_cvt_f32_f16_e32 v8, s4
	v_cvt_f32_f16_e32 v12, s0
	s_waitcnt vmcnt(4)
	v_and_b32_e32 v9, 3, v5
	v_bfe_u32 v10, v5, 2, 2
	v_bfe_u32 v11, v5, 4, 2
	v_lshrrev_b32_e32 v5, 6, v5
	v_cvt_f32_ubyte0_e32 v9, v9
	s_waitcnt vmcnt(3)
	v_and_b32_e32 v13, 15, v4
	v_lshrrev_b32_e32 v4, 4, v4
	s_waitcnt vmcnt(2)
	v_and_b32_e32 v14, 15, v6
	v_lshrrev_b32_e32 v6, 4, v6
	;; [unrolled: 3-line block ×4, first 2 shown]
	v_cvt_f32_ubyte0_e32 v13, v13
	v_cvt_f32_ubyte0_e32 v4, v4
	;; [unrolled: 1-line block ×8, first 2 shown]
	v_mul_f32_e32 v13, v8, v13
	v_mul_f32_e32 v4, v12, v4
	v_cvt_f32_ubyte0_e32 v10, v10
	v_mul_f32_e32 v14, v8, v14
	v_mul_f32_e32 v6, v12, v6
	v_cvt_f32_ubyte0_e32 v11, v11
	;; [unrolled: 3-line block ×3, first 2 shown]
	v_mul_f32_e32 v8, v8, v16
	v_mul_f32_e32 v12, v12, v1
	v_add_co_ci_u32_e64 v1, null, 0, v3, vcc_lo
	v_fma_mixlo_f16 v2, v13, v9, -v4
	v_fma_mixlo_f16 v3, v14, v10, -v6
	;; [unrolled: 1-line block ×4, first 2 shown]
	global_store_short v[0:1], v2, off
	global_store_short v[0:1], v3, off offset:64
	global_store_short v[0:1], v4, off offset:128
	global_store_short v[0:1], v5, off offset:192
	s_endpgm
	.section	.rodata,"a",@progbits
	.p2align	6, 0x0
	.amdhsa_kernel _ZL21dequantize_block_q2_KI6__halfEvPKvPT_
		.amdhsa_group_segment_fixed_size 0
		.amdhsa_private_segment_fixed_size 0
		.amdhsa_kernarg_size 16
		.amdhsa_user_sgpr_count 6
		.amdhsa_user_sgpr_private_segment_buffer 1
		.amdhsa_user_sgpr_dispatch_ptr 0
		.amdhsa_user_sgpr_queue_ptr 0
		.amdhsa_user_sgpr_kernarg_segment_ptr 1
		.amdhsa_user_sgpr_dispatch_id 0
		.amdhsa_user_sgpr_flat_scratch_init 0
		.amdhsa_user_sgpr_private_segment_size 0
		.amdhsa_wavefront_size32 1
		.amdhsa_uses_dynamic_stack 0
		.amdhsa_system_sgpr_private_segment_wavefront_offset 0
		.amdhsa_system_sgpr_workgroup_id_x 1
		.amdhsa_system_sgpr_workgroup_id_y 0
		.amdhsa_system_sgpr_workgroup_id_z 0
		.amdhsa_system_sgpr_workgroup_info 0
		.amdhsa_system_vgpr_workitem_id 0
		.amdhsa_next_free_vgpr 17
		.amdhsa_next_free_sgpr 8
		.amdhsa_reserve_vcc 1
		.amdhsa_reserve_flat_scratch 0
		.amdhsa_float_round_mode_32 0
		.amdhsa_float_round_mode_16_64 0
		.amdhsa_float_denorm_mode_32 3
		.amdhsa_float_denorm_mode_16_64 3
		.amdhsa_dx10_clamp 1
		.amdhsa_ieee_mode 1
		.amdhsa_fp16_overflow 0
		.amdhsa_workgroup_processor_mode 1
		.amdhsa_memory_ordered 1
		.amdhsa_forward_progress 1
		.amdhsa_shared_vgpr_count 0
		.amdhsa_exception_fp_ieee_invalid_op 0
		.amdhsa_exception_fp_denorm_src 0
		.amdhsa_exception_fp_ieee_div_zero 0
		.amdhsa_exception_fp_ieee_overflow 0
		.amdhsa_exception_fp_ieee_underflow 0
		.amdhsa_exception_fp_ieee_inexact 0
		.amdhsa_exception_int_div_zero 0
	.end_amdhsa_kernel
	.section	.text._ZL21dequantize_block_q2_KI6__halfEvPKvPT_,"axG",@progbits,_ZL21dequantize_block_q2_KI6__halfEvPKvPT_,comdat
.Lfunc_end4:
	.size	_ZL21dequantize_block_q2_KI6__halfEvPKvPT_, .Lfunc_end4-_ZL21dequantize_block_q2_KI6__halfEvPKvPT_
                                        ; -- End function
	.set _ZL21dequantize_block_q2_KI6__halfEvPKvPT_.num_vgpr, 17
	.set _ZL21dequantize_block_q2_KI6__halfEvPKvPT_.num_agpr, 0
	.set _ZL21dequantize_block_q2_KI6__halfEvPKvPT_.numbered_sgpr, 8
	.set _ZL21dequantize_block_q2_KI6__halfEvPKvPT_.num_named_barrier, 0
	.set _ZL21dequantize_block_q2_KI6__halfEvPKvPT_.private_seg_size, 0
	.set _ZL21dequantize_block_q2_KI6__halfEvPKvPT_.uses_vcc, 1
	.set _ZL21dequantize_block_q2_KI6__halfEvPKvPT_.uses_flat_scratch, 0
	.set _ZL21dequantize_block_q2_KI6__halfEvPKvPT_.has_dyn_sized_stack, 0
	.set _ZL21dequantize_block_q2_KI6__halfEvPKvPT_.has_recursion, 0
	.set _ZL21dequantize_block_q2_KI6__halfEvPKvPT_.has_indirect_call, 0
	.section	.AMDGPU.csdata,"",@progbits
; Kernel info:
; codeLenInByte = 436
; TotalNumSgprs: 10
; NumVgprs: 17
; ScratchSize: 0
; MemoryBound: 0
; FloatMode: 240
; IeeeMode: 1
; LDSByteSize: 0 bytes/workgroup (compile time only)
; SGPRBlocks: 0
; VGPRBlocks: 2
; NumSGPRsForWavesPerEU: 10
; NumVGPRsForWavesPerEU: 17
; Occupancy: 16
; WaveLimiterHint : 0
; COMPUTE_PGM_RSRC2:SCRATCH_EN: 0
; COMPUTE_PGM_RSRC2:USER_SGPR: 6
; COMPUTE_PGM_RSRC2:TRAP_HANDLER: 0
; COMPUTE_PGM_RSRC2:TGID_X_EN: 1
; COMPUTE_PGM_RSRC2:TGID_Y_EN: 0
; COMPUTE_PGM_RSRC2:TGID_Z_EN: 0
; COMPUTE_PGM_RSRC2:TIDIG_COMP_CNT: 0
	.section	.text._ZL21dequantize_block_q3_KI6__halfEvPKvPT_,"axG",@progbits,_ZL21dequantize_block_q3_KI6__halfEvPKvPT_,comdat
	.globl	_ZL21dequantize_block_q3_KI6__halfEvPKvPT_ ; -- Begin function _ZL21dequantize_block_q3_KI6__halfEvPKvPT_
	.p2align	8
	.type	_ZL21dequantize_block_q3_KI6__halfEvPKvPT_,@function
_ZL21dequantize_block_q3_KI6__halfEvPKvPT_: ; @_ZL21dequantize_block_q3_KI6__halfEvPKvPT_
; %bb.0:
	v_lshrrev_b32_e32 v9, 5, v0
	v_lshrrev_b32_e32 v10, 3, v0
	;; [unrolled: 1-line block ×3, first 2 shown]
	v_bfe_u32 v11, v0, 2, 1
	s_mov_b32 s7, 0
	v_lshlrev_b32_e32 v1, 2, v9
	s_mov_b32 s8, exec_lo
	v_and_b32_e32 v5, 0xf8, v5
                                        ; implicit-def: $vgpr12
	v_sub_co_u32 v3, s0, v10, v1
	v_sub_co_ci_u32_e64 v4, null, 0, 0, s0
	s_load_dwordx4 s[0:3], s[4:5], 0x0
	s_mul_hi_u32 s4, s6, 0x6e
	s_mul_i32 s5, s6, 0x6e
	v_lshlrev_b64 v[1:2], 1, v[3:4]
	v_add_co_u32 v7, vcc_lo, v1, v5
	v_add_co_ci_u32_e64 v8, null, 0, v2, vcc_lo
                                        ; implicit-def: $vgpr2
	v_or_b32_e32 v5, v7, v11
	v_mov_b32_e32 v6, v8
	v_cmpx_lt_i64_e32 3, v[5:6]
	s_xor_b32 s8, exec_lo, s8
	s_cbranch_execz .LBB5_10
; %bb.1:
	s_mov_b32 s9, exec_lo
                                        ; implicit-def: $vgpr12
                                        ; implicit-def: $vgpr2
	v_cmpx_lt_u64_e32 7, v[7:8]
	s_xor_b32 s9, exec_lo, s9
	s_cbranch_execz .LBB5_7
; %bb.2:
	s_waitcnt lgkmcnt(0)
	s_add_u32 s10, s0, s5
	s_addc_u32 s11, s1, s4
	v_add_co_u32 v5, vcc_lo, s10, v5
	v_add_co_ci_u32_e64 v6, null, s11, v6, vcc_lo
	s_mov_b32 s10, exec_lo
                                        ; implicit-def: $vgpr2
	global_load_ubyte v12, v[5:6], off offset:88
	v_cmpx_lt_u64_e32 11, v[7:8]
	s_xor_b32 s10, exec_lo, s10
	s_cbranch_execz .LBB5_4
; %bb.3:
	global_load_ubyte v2, v[5:6], off offset:92
                                        ; implicit-def: $vgpr5_vgpr6
	s_waitcnt vmcnt(0)
	v_lshrrev_b16 v2, 2, v2
.LBB5_4:
	s_andn2_saveexec_b32 s10, s10
	s_cbranch_execz .LBB5_6
; %bb.5:
	global_load_ubyte v2, v[5:6], off offset:96
.LBB5_6:
	s_or_b32 exec_lo, exec_lo, s10
	s_waitcnt vmcnt(0)
	v_lshrrev_b16 v12, 4, v12
                                        ; implicit-def: $vgpr5_vgpr6
.LBB5_7:
	s_andn2_saveexec_b32 s9, s9
	s_cbranch_execz .LBB5_9
; %bb.8:
	s_waitcnt lgkmcnt(0)
	s_add_u32 s10, s0, s5
	s_addc_u32 s11, s1, s4
	v_add_co_u32 v5, vcc_lo, s10, v5
	v_add_co_ci_u32_e64 v6, null, s11, v6, vcc_lo
	s_clause 0x1
	global_load_ubyte v2, v[5:6], off offset:96
	global_load_ubyte v5, v[5:6], off offset:100
	s_waitcnt vmcnt(1)
	v_and_b32_e32 v12, 15, v2
	s_waitcnt vmcnt(0)
	v_lshlrev_b16 v2, 2, v5
.LBB5_9:
	s_or_b32 exec_lo, exec_lo, s9
                                        ; implicit-def: $vgpr5_vgpr6
.LBB5_10:
	s_andn2_saveexec_b32 s8, s8
	s_cbranch_execz .LBB5_12
; %bb.11:
	s_waitcnt lgkmcnt(0)
	s_add_u32 s9, s0, s5
	s_addc_u32 s10, s1, s4
	v_add_co_u32 v5, vcc_lo, s9, v5
	v_add_co_ci_u32_e64 v6, null, s10, v6, vcc_lo
	s_clause 0x1
	global_load_ubyte v2, v[5:6], off offset:96
	global_load_ubyte v5, v[5:6], off offset:104
	s_waitcnt vmcnt(1)
	v_and_b32_e32 v12, 15, v2
	s_waitcnt vmcnt(0)
	v_lshlrev_b16 v2, 4, v5
.LBB5_12:
	s_or_b32 exec_lo, exec_lo, s8
	v_lshlrev_b32_e32 v0, 2, v0
	v_lshlrev_b32_e32 v5, 5, v9
	s_waitcnt lgkmcnt(0)
	s_add_u32 s0, s0, s5
	s_addc_u32 s1, s1, s4
	v_lshlrev_b32_e64 v7, v10, 1
	v_and_b32_e32 v0, 12, v0
	v_and_b32_e32 v15, 48, v2
	v_mov_b32_e32 v10, 32
	v_lshlrev_b64 v[2:3], 6, v[3:4]
	v_lshlrev_b32_e32 v9, 8, v9
	v_lshl_or_b32 v8, v11, 4, v0
	v_add_co_u32 v0, s4, s0, v5
	v_add_co_ci_u32_e64 v6, null, s1, 0, s4
	v_or_b32_e32 v4, v15, v12
	v_add_co_u32 v5, vcc_lo, v0, v8
	v_add_co_ci_u32_e64 v6, null, 0, v6, vcc_lo
	v_mov_b32_e32 v0, 0
	s_clause 0x1
	global_load_ubyte v11, v8, s[0:1]
	global_load_ubyte v13, v[5:6], off offset:32
	s_lshl_b64 s[4:5], s[6:7], 9
	v_sub_nc_u32_sdwa v4, v4, v10 dst_sel:DWORD dst_unused:UNUSED_PAD src0_sel:BYTE_0 src1_sel:DWORD
	global_load_ushort v14, v0, s[0:1] offset:108
	s_add_u32 s2, s2, s4
	s_addc_u32 s3, s3, s5
	v_add_co_u32 v9, s2, s2, v9
	v_add_co_ci_u32_e64 v12, null, s3, 0, s2
	v_cvt_f32_i32_e32 v4, v4
	s_mov_b32 s2, exec_lo
	s_waitcnt vmcnt(2)
	v_and_b32_e32 v11, v7, v11
	s_waitcnt vmcnt(1)
	v_lshrrev_b32_e32 v10, v1, v13
	s_waitcnt vmcnt(0)
	v_cvt_f32_f16_e32 v13, v14
	v_cmp_eq_u32_e32 vcc_lo, 0, v11
	v_mul_f32_e32 v4, v13, v4
	v_cndmask_b32_e64 v11, 0, -4, vcc_lo
	v_add_co_u32 v2, vcc_lo, v9, v2
	v_add_co_ci_u32_e64 v3, null, v12, v3, vcc_lo
	v_and_or_b32 v10, v10, 3, v11
	v_lshlrev_b32_e32 v11, 1, v8
	v_add_nc_u32_e32 v9, 4, v8
	v_or_b32_e32 v12, 1, v8
	v_cvt_f32_i32_e32 v10, v10
	v_add_co_u32 v2, vcc_lo, v2, v11
	v_add_co_ci_u32_e64 v3, null, 0, v3, vcc_lo
	v_fma_mixlo_f16 v10, v4, v10, 0
	global_store_short v[2:3], v10, off
	v_cmpx_gt_u32_e64 v9, v12
	s_cbranch_execz .LBB5_14
; %bb.13:
	v_add_co_u32 v9, s2, s0, v8
	v_add_co_ci_u32_e64 v10, null, s1, 0, s2
	s_clause 0x3
	global_load_ubyte v11, v[5:6], off offset:33
	global_load_ushort v9, v[9:10], off offset:2
	global_load_ushort v5, v[5:6], off offset:34
	global_load_ubyte v6, v8, s[0:1] offset:1
	v_mov_b32_e32 v8, 0xffff
	s_waitcnt vmcnt(3)
	v_lshrrev_b32_e32 v10, v1, v11
	s_waitcnt vmcnt(2)
	v_and_b32_e32 v11, v9, v7
	v_and_b32_sdwa v9, v8, v9 dst_sel:DWORD dst_unused:UNUSED_PAD src0_sel:DWORD src1_sel:BYTE_1
	s_waitcnt vmcnt(0)
	v_and_b32_e32 v6, v7, v6
	v_lshrrev_b32_sdwa v12, v1, v5 dst_sel:DWORD dst_unused:UNUSED_PAD src0_sel:DWORD src1_sel:BYTE_0
	v_and_b32_sdwa v5, v8, v5 dst_sel:DWORD dst_unused:UNUSED_PAD src0_sel:DWORD src1_sel:BYTE_1
	v_cmp_eq_u32_sdwa s0, v11, v0 src0_sel:BYTE_0 src1_sel:DWORD
	v_and_b32_e32 v7, v7, v9
	v_cmp_eq_u32_e32 vcc_lo, 0, v6
	v_lshrrev_b32_e32 v1, v1, v5
	v_cndmask_b32_e64 v0, 0, -4, s0
	v_cndmask_b32_e64 v5, 0, -4, vcc_lo
	v_cmp_eq_u32_e32 vcc_lo, 0, v7
	v_and_or_b32 v0, v12, 3, v0
	v_and_or_b32 v5, v10, 3, v5
	v_cndmask_b32_e64 v6, 0, -4, vcc_lo
	v_cvt_f32_i32_e32 v0, v0
	v_cvt_f32_i32_e32 v5, v5
	v_and_or_b32 v1, v1, 3, v6
	v_fma_mixlo_f16 v0, v4, v0, 0
	v_fma_mixlo_f16 v5, v4, v5, 0
	v_cvt_f32_i32_e32 v1, v1
	v_fma_mixhi_f16 v0, v4, v1, 0
	global_store_short v[2:3], v5, off offset:2
	global_store_dword v[2:3], v0, off offset:4
.LBB5_14:
	s_endpgm
	.section	.rodata,"a",@progbits
	.p2align	6, 0x0
	.amdhsa_kernel _ZL21dequantize_block_q3_KI6__halfEvPKvPT_
		.amdhsa_group_segment_fixed_size 0
		.amdhsa_private_segment_fixed_size 0
		.amdhsa_kernarg_size 16
		.amdhsa_user_sgpr_count 6
		.amdhsa_user_sgpr_private_segment_buffer 1
		.amdhsa_user_sgpr_dispatch_ptr 0
		.amdhsa_user_sgpr_queue_ptr 0
		.amdhsa_user_sgpr_kernarg_segment_ptr 1
		.amdhsa_user_sgpr_dispatch_id 0
		.amdhsa_user_sgpr_flat_scratch_init 0
		.amdhsa_user_sgpr_private_segment_size 0
		.amdhsa_wavefront_size32 1
		.amdhsa_uses_dynamic_stack 0
		.amdhsa_system_sgpr_private_segment_wavefront_offset 0
		.amdhsa_system_sgpr_workgroup_id_x 1
		.amdhsa_system_sgpr_workgroup_id_y 0
		.amdhsa_system_sgpr_workgroup_id_z 0
		.amdhsa_system_sgpr_workgroup_info 0
		.amdhsa_system_vgpr_workitem_id 0
		.amdhsa_next_free_vgpr 16
		.amdhsa_next_free_sgpr 12
		.amdhsa_reserve_vcc 1
		.amdhsa_reserve_flat_scratch 0
		.amdhsa_float_round_mode_32 0
		.amdhsa_float_round_mode_16_64 0
		.amdhsa_float_denorm_mode_32 3
		.amdhsa_float_denorm_mode_16_64 3
		.amdhsa_dx10_clamp 1
		.amdhsa_ieee_mode 1
		.amdhsa_fp16_overflow 0
		.amdhsa_workgroup_processor_mode 1
		.amdhsa_memory_ordered 1
		.amdhsa_forward_progress 1
		.amdhsa_shared_vgpr_count 0
		.amdhsa_exception_fp_ieee_invalid_op 0
		.amdhsa_exception_fp_denorm_src 0
		.amdhsa_exception_fp_ieee_div_zero 0
		.amdhsa_exception_fp_ieee_overflow 0
		.amdhsa_exception_fp_ieee_underflow 0
		.amdhsa_exception_fp_ieee_inexact 0
		.amdhsa_exception_int_div_zero 0
	.end_amdhsa_kernel
	.section	.text._ZL21dequantize_block_q3_KI6__halfEvPKvPT_,"axG",@progbits,_ZL21dequantize_block_q3_KI6__halfEvPKvPT_,comdat
.Lfunc_end5:
	.size	_ZL21dequantize_block_q3_KI6__halfEvPKvPT_, .Lfunc_end5-_ZL21dequantize_block_q3_KI6__halfEvPKvPT_
                                        ; -- End function
	.set _ZL21dequantize_block_q3_KI6__halfEvPKvPT_.num_vgpr, 16
	.set _ZL21dequantize_block_q3_KI6__halfEvPKvPT_.num_agpr, 0
	.set _ZL21dequantize_block_q3_KI6__halfEvPKvPT_.numbered_sgpr, 12
	.set _ZL21dequantize_block_q3_KI6__halfEvPKvPT_.num_named_barrier, 0
	.set _ZL21dequantize_block_q3_KI6__halfEvPKvPT_.private_seg_size, 0
	.set _ZL21dequantize_block_q3_KI6__halfEvPKvPT_.uses_vcc, 1
	.set _ZL21dequantize_block_q3_KI6__halfEvPKvPT_.uses_flat_scratch, 0
	.set _ZL21dequantize_block_q3_KI6__halfEvPKvPT_.has_dyn_sized_stack, 0
	.set _ZL21dequantize_block_q3_KI6__halfEvPKvPT_.has_recursion, 0
	.set _ZL21dequantize_block_q3_KI6__halfEvPKvPT_.has_indirect_call, 0
	.section	.AMDGPU.csdata,"",@progbits
; Kernel info:
; codeLenInByte = 936
; TotalNumSgprs: 14
; NumVgprs: 16
; ScratchSize: 0
; MemoryBound: 0
; FloatMode: 240
; IeeeMode: 1
; LDSByteSize: 0 bytes/workgroup (compile time only)
; SGPRBlocks: 0
; VGPRBlocks: 1
; NumSGPRsForWavesPerEU: 14
; NumVGPRsForWavesPerEU: 16
; Occupancy: 16
; WaveLimiterHint : 0
; COMPUTE_PGM_RSRC2:SCRATCH_EN: 0
; COMPUTE_PGM_RSRC2:USER_SGPR: 6
; COMPUTE_PGM_RSRC2:TRAP_HANDLER: 0
; COMPUTE_PGM_RSRC2:TGID_X_EN: 1
; COMPUTE_PGM_RSRC2:TGID_Y_EN: 0
; COMPUTE_PGM_RSRC2:TGID_Z_EN: 0
; COMPUTE_PGM_RSRC2:TIDIG_COMP_CNT: 0
	.section	.text._ZL21dequantize_block_q4_KI6__halfEvPKvPT_,"axG",@progbits,_ZL21dequantize_block_q4_KI6__halfEvPKvPT_,comdat
	.globl	_ZL21dequantize_block_q4_KI6__halfEvPKvPT_ ; -- Begin function _ZL21dequantize_block_q4_KI6__halfEvPKvPT_
	.p2align	8
	.type	_ZL21dequantize_block_q4_KI6__halfEvPKvPT_,@function
_ZL21dequantize_block_q4_KI6__halfEvPKvPT_: ; @_ZL21dequantize_block_q4_KI6__halfEvPKvPT_
; %bb.0:
	s_load_dwordx2 s[0:1], s[4:5], 0x0
	v_lshrrev_b32_e32 v3, 3, v0
	s_mul_i32 s2, s6, 0x90
	s_mul_hi_u32 s3, s6, 0x90
	v_cmp_lt_u32_e32 vcc_lo, 15, v0
                                        ; implicit-def: $vgpr5
                                        ; implicit-def: $vgpr4
	v_lshlrev_b32_e32 v1, 1, v3
	s_waitcnt lgkmcnt(0)
	s_add_u32 s2, s0, s2
	s_addc_u32 s3, s1, s3
	v_add_co_u32 v1, s0, s2, v1
	v_add_co_ci_u32_e64 v2, null, s3, 0, s0
	s_and_saveexec_b32 s0, vcc_lo
	s_xor_b32 s0, exec_lo, s0
	s_cbranch_execz .LBB6_2
; %bb.1:
	s_clause 0x2
	global_load_ubyte v4, v[1:2], off
	global_load_ubyte v5, v[1:2], off offset:4
	global_load_ubyte v6, v[1:2], off offset:8
	s_waitcnt vmcnt(2)
	v_lshrrev_b16 v4, 2, v4
	s_waitcnt vmcnt(1)
	v_lshrrev_b16 v5, 2, v5
	s_waitcnt vmcnt(0)
	v_and_b32_e32 v7, 15, v6
	v_lshrrev_b16 v6, 4, v6
	v_and_b32_e32 v4, 48, v4
	v_and_b32_e32 v5, 48, v5
	v_or_b32_e32 v4, v4, v7
	v_or_b32_e32 v5, v5, v6
.LBB6_2:
	s_andn2_saveexec_b32 s0, s0
	s_cbranch_execz .LBB6_4
; %bb.3:
	s_clause 0x1
	global_load_ubyte v4, v[1:2], off offset:4
	global_load_ubyte v5, v[1:2], off offset:8
	s_waitcnt vmcnt(1)
	v_and_b32_e32 v4, 63, v4
	s_waitcnt vmcnt(0)
	v_and_b32_e32 v5, 63, v5
.LBB6_4:
	s_or_b32 exec_lo, exec_lo, s0
	s_load_dwordx2 s[0:1], s[4:5], 0x8
	s_load_dword s2, s[2:3], 0x0
	s_mov_b32 s7, 0
                                        ; implicit-def: $vgpr7
                                        ; implicit-def: $vgpr6
	s_and_saveexec_b32 s3, vcc_lo
	s_xor_b32 s3, exec_lo, s3
	s_cbranch_execz .LBB6_6
; %bb.5:
	s_clause 0x2
	global_load_ubyte v6, v[1:2], off offset:1
	global_load_ubyte v7, v[1:2], off offset:5
	;; [unrolled: 1-line block ×3, first 2 shown]
	s_waitcnt vmcnt(2)
	v_lshrrev_b16 v6, 2, v6
	s_waitcnt vmcnt(1)
	v_lshrrev_b16 v7, 2, v7
	s_waitcnt vmcnt(0)
	v_and_b32_e32 v9, 15, v8
	v_lshrrev_b16 v8, 4, v8
	v_and_b32_e32 v6, 48, v6
	v_and_b32_e32 v7, 48, v7
	v_or_b32_e32 v6, v6, v9
	v_or_b32_e32 v7, v7, v8
.LBB6_6:
	s_andn2_saveexec_b32 s3, s3
	s_cbranch_execz .LBB6_8
; %bb.7:
	s_clause 0x1
	global_load_ubyte v6, v[1:2], off offset:5
	global_load_ubyte v7, v[1:2], off offset:9
	s_waitcnt vmcnt(1)
	v_and_b32_e32 v6, 63, v6
	s_waitcnt vmcnt(0)
	v_and_b32_e32 v7, 63, v7
.LBB6_8:
	s_or_b32 exec_lo, exec_lo, s3
	v_lshlrev_b32_e32 v8, 2, v0
	v_mad_u64_u32 v[0:1], null, v3, 30, v[1:2]
	s_waitcnt lgkmcnt(0)
	s_lshr_b32 s4, s2, 16
	v_cvt_f32_ubyte0_e32 v7, v7
	v_and_b32_e32 v2, 28, v8
	v_cvt_f32_f16_e32 v8, s4
	v_cvt_f32_ubyte0_e32 v4, v4
	v_lshlrev_b32_e32 v3, 7, v3
	v_cvt_f32_ubyte0_e32 v6, v6
	v_add_co_u32 v0, vcc_lo, v0, v2
	v_add_co_ci_u32_e64 v1, null, 0, v1, vcc_lo
	v_mul_f32_e32 v7, v8, v7
	global_load_dword v0, v[0:1], off offset:16
	v_cvt_f32_ubyte0_e32 v1, v5
	v_cvt_f32_f16_e32 v5, s2
	s_lshl_b64 s[2:3], s[6:7], 9
	s_add_u32 s0, s0, s2
	v_mul_f32_e32 v11, v8, v1
	v_mul_f32_e32 v9, v5, v4
	v_add_co_u32 v4, s0, s0, v3
	v_mul_f32_e32 v6, v5, v6
	v_lshlrev_b32_e32 v5, 1, v2
	s_addc_u32 s1, s1, s3
	v_add_co_ci_u32_e64 v10, null, s1, 0, s0
	v_add_co_u32 v4, vcc_lo, v4, v5
	v_add_co_ci_u32_e64 v5, null, 0, v10, vcc_lo
	s_waitcnt vmcnt(0)
	v_lshrrev_b32_e32 v1, 8, v0
	v_lshrrev_b16 v8, 4, v0
	v_and_b32_e32 v3, 15, v0
	v_bfe_u32 v13, v0, 16, 4
	v_lshrrev_b32_e32 v2, 24, v0
	v_bfe_u32 v14, v0, 20, 4
	v_and_b32_e32 v8, 15, v8
	v_lshrrev_b16 v1, 4, v1
	v_bfe_u32 v12, v0, 8, 4
	v_bfe_u32 v0, v0, 24, 4
	v_cvt_f32_ubyte0_e32 v3, v3
	v_cvt_f32_ubyte0_e32 v13, v13
	;; [unrolled: 1-line block ×3, first 2 shown]
	v_lshrrev_b16 v2, 4, v2
	v_cvt_f32_ubyte0_e32 v8, v8
	v_and_b32_e32 v16, 15, v1
	v_cvt_f32_ubyte0_e32 v12, v12
	v_cvt_f32_ubyte0_e32 v15, v0
	v_fma_mixlo_f16 v0, v9, v3, -v11
	v_fma_mixlo_f16 v1, v9, v13, -v11
	;; [unrolled: 1-line block ×3, first 2 shown]
	v_cvt_f32_ubyte0_e32 v13, v2
	v_fma_mixlo_f16 v2, v6, v8, -v7
	v_cvt_f32_ubyte0_e32 v8, v16
	v_fma_mixhi_f16 v1, v9, v15, -v11
	v_fma_mixhi_f16 v0, v9, v12, -v11
	;; [unrolled: 1-line block ×4, first 2 shown]
	global_store_dwordx2 v[4:5], v[0:1], off
	global_store_dwordx2 v[4:5], v[2:3], off offset:64
	s_endpgm
	.section	.rodata,"a",@progbits
	.p2align	6, 0x0
	.amdhsa_kernel _ZL21dequantize_block_q4_KI6__halfEvPKvPT_
		.amdhsa_group_segment_fixed_size 0
		.amdhsa_private_segment_fixed_size 0
		.amdhsa_kernarg_size 16
		.amdhsa_user_sgpr_count 6
		.amdhsa_user_sgpr_private_segment_buffer 1
		.amdhsa_user_sgpr_dispatch_ptr 0
		.amdhsa_user_sgpr_queue_ptr 0
		.amdhsa_user_sgpr_kernarg_segment_ptr 1
		.amdhsa_user_sgpr_dispatch_id 0
		.amdhsa_user_sgpr_flat_scratch_init 0
		.amdhsa_user_sgpr_private_segment_size 0
		.amdhsa_wavefront_size32 1
		.amdhsa_uses_dynamic_stack 0
		.amdhsa_system_sgpr_private_segment_wavefront_offset 0
		.amdhsa_system_sgpr_workgroup_id_x 1
		.amdhsa_system_sgpr_workgroup_id_y 0
		.amdhsa_system_sgpr_workgroup_id_z 0
		.amdhsa_system_sgpr_workgroup_info 0
		.amdhsa_system_vgpr_workitem_id 0
		.amdhsa_next_free_vgpr 17
		.amdhsa_next_free_sgpr 8
		.amdhsa_reserve_vcc 1
		.amdhsa_reserve_flat_scratch 0
		.amdhsa_float_round_mode_32 0
		.amdhsa_float_round_mode_16_64 0
		.amdhsa_float_denorm_mode_32 3
		.amdhsa_float_denorm_mode_16_64 3
		.amdhsa_dx10_clamp 1
		.amdhsa_ieee_mode 1
		.amdhsa_fp16_overflow 0
		.amdhsa_workgroup_processor_mode 1
		.amdhsa_memory_ordered 1
		.amdhsa_forward_progress 1
		.amdhsa_shared_vgpr_count 0
		.amdhsa_exception_fp_ieee_invalid_op 0
		.amdhsa_exception_fp_denorm_src 0
		.amdhsa_exception_fp_ieee_div_zero 0
		.amdhsa_exception_fp_ieee_overflow 0
		.amdhsa_exception_fp_ieee_underflow 0
		.amdhsa_exception_fp_ieee_inexact 0
		.amdhsa_exception_int_div_zero 0
	.end_amdhsa_kernel
	.section	.text._ZL21dequantize_block_q4_KI6__halfEvPKvPT_,"axG",@progbits,_ZL21dequantize_block_q4_KI6__halfEvPKvPT_,comdat
.Lfunc_end6:
	.size	_ZL21dequantize_block_q4_KI6__halfEvPKvPT_, .Lfunc_end6-_ZL21dequantize_block_q4_KI6__halfEvPKvPT_
                                        ; -- End function
	.set _ZL21dequantize_block_q4_KI6__halfEvPKvPT_.num_vgpr, 17
	.set _ZL21dequantize_block_q4_KI6__halfEvPKvPT_.num_agpr, 0
	.set _ZL21dequantize_block_q4_KI6__halfEvPKvPT_.numbered_sgpr, 8
	.set _ZL21dequantize_block_q4_KI6__halfEvPKvPT_.num_named_barrier, 0
	.set _ZL21dequantize_block_q4_KI6__halfEvPKvPT_.private_seg_size, 0
	.set _ZL21dequantize_block_q4_KI6__halfEvPKvPT_.uses_vcc, 1
	.set _ZL21dequantize_block_q4_KI6__halfEvPKvPT_.uses_flat_scratch, 0
	.set _ZL21dequantize_block_q4_KI6__halfEvPKvPT_.has_dyn_sized_stack, 0
	.set _ZL21dequantize_block_q4_KI6__halfEvPKvPT_.has_recursion, 0
	.set _ZL21dequantize_block_q4_KI6__halfEvPKvPT_.has_indirect_call, 0
	.section	.AMDGPU.csdata,"",@progbits
; Kernel info:
; codeLenInByte = 708
; TotalNumSgprs: 10
; NumVgprs: 17
; ScratchSize: 0
; MemoryBound: 0
; FloatMode: 240
; IeeeMode: 1
; LDSByteSize: 0 bytes/workgroup (compile time only)
; SGPRBlocks: 0
; VGPRBlocks: 2
; NumSGPRsForWavesPerEU: 10
; NumVGPRsForWavesPerEU: 17
; Occupancy: 16
; WaveLimiterHint : 0
; COMPUTE_PGM_RSRC2:SCRATCH_EN: 0
; COMPUTE_PGM_RSRC2:USER_SGPR: 6
; COMPUTE_PGM_RSRC2:TRAP_HANDLER: 0
; COMPUTE_PGM_RSRC2:TGID_X_EN: 1
; COMPUTE_PGM_RSRC2:TGID_Y_EN: 0
; COMPUTE_PGM_RSRC2:TGID_Z_EN: 0
; COMPUTE_PGM_RSRC2:TIDIG_COMP_CNT: 0
	.section	.text._ZL21dequantize_block_q5_KI6__halfEvPKvPT_,"axG",@progbits,_ZL21dequantize_block_q5_KI6__halfEvPKvPT_,comdat
	.globl	_ZL21dequantize_block_q5_KI6__halfEvPKvPT_ ; -- Begin function _ZL21dequantize_block_q5_KI6__halfEvPKvPT_
	.p2align	8
	.type	_ZL21dequantize_block_q5_KI6__halfEvPKvPT_,@function
_ZL21dequantize_block_q5_KI6__halfEvPKvPT_: ; @_ZL21dequantize_block_q5_KI6__halfEvPKvPT_
; %bb.0:
	s_load_dwordx2 s[0:1], s[4:5], 0x0
	v_lshrrev_b32_e32 v4, 4, v0
	s_mul_i32 s3, s6, 0xb0
	s_mul_hi_u32 s2, s6, 0xb0
	v_cmp_lt_u32_e32 vcc_lo, 31, v0
                                        ; implicit-def: $vgpr6
                                        ; implicit-def: $vgpr5
	v_lshlrev_b32_e32 v3, 1, v4
	s_waitcnt lgkmcnt(0)
	s_add_u32 s0, s0, s3
	s_addc_u32 s1, s1, s2
	v_add_co_u32 v1, s2, s0, v3
	v_add_co_ci_u32_e64 v2, null, s1, 0, s2
	s_and_saveexec_b32 s2, vcc_lo
	s_xor_b32 s2, exec_lo, s2
	s_cbranch_execz .LBB7_2
; %bb.1:
	s_clause 0x2
	global_load_ubyte v5, v[1:2], off
	global_load_ubyte v6, v[1:2], off offset:4
	global_load_ubyte v7, v[1:2], off offset:8
	s_waitcnt vmcnt(2)
	v_lshrrev_b16 v5, 2, v5
	s_waitcnt vmcnt(1)
	v_lshrrev_b16 v6, 2, v6
	s_waitcnt vmcnt(0)
	v_and_b32_e32 v8, 15, v7
	v_lshrrev_b16 v7, 4, v7
	v_and_b32_e32 v5, 48, v5
	v_and_b32_e32 v6, 48, v6
	v_or_b32_e32 v5, v5, v8
	v_or_b32_e32 v6, v6, v7
.LBB7_2:
	s_andn2_saveexec_b32 s2, s2
	s_cbranch_execz .LBB7_4
; %bb.3:
	s_clause 0x1
	global_load_ubyte v5, v[1:2], off offset:4
	global_load_ubyte v6, v[1:2], off offset:8
	s_waitcnt vmcnt(1)
	v_and_b32_e32 v5, 63, v5
	s_waitcnt vmcnt(0)
	v_and_b32_e32 v6, 63, v6
.LBB7_4:
	s_or_b32 exec_lo, exec_lo, s2
	s_load_dwordx2 s[2:3], s[4:5], 0x8
	s_load_dword s4, s[0:1], 0x0
	s_mov_b32 s7, 0
                                        ; implicit-def: $vgpr8
                                        ; implicit-def: $vgpr7
	s_and_saveexec_b32 s5, vcc_lo
	s_xor_b32 s5, exec_lo, s5
	s_cbranch_execz .LBB7_6
; %bb.5:
	s_clause 0x2
	global_load_ubyte v7, v[1:2], off offset:1
	global_load_ubyte v8, v[1:2], off offset:5
	;; [unrolled: 1-line block ×3, first 2 shown]
	s_waitcnt vmcnt(2)
	v_lshrrev_b16 v7, 2, v7
	s_waitcnt vmcnt(1)
	v_lshrrev_b16 v8, 2, v8
	s_waitcnt vmcnt(0)
	v_and_b32_e32 v10, 15, v9
	v_lshrrev_b16 v9, 4, v9
	v_and_b32_e32 v7, 48, v7
	v_and_b32_e32 v8, 48, v8
	v_or_b32_e32 v7, v7, v10
	v_or_b32_e32 v8, v8, v9
.LBB7_6:
	s_andn2_saveexec_b32 s5, s5
	s_cbranch_execz .LBB7_8
; %bb.7:
	s_clause 0x1
	global_load_ubyte v7, v[1:2], off offset:5
	global_load_ubyte v8, v[1:2], off offset:9
	s_waitcnt vmcnt(1)
	v_and_b32_e32 v7, 63, v7
	s_waitcnt vmcnt(0)
	v_and_b32_e32 v8, 63, v8
.LBB7_8:
	s_or_b32 exec_lo, exec_lo, s5
	v_lshlrev_b32_e32 v9, 1, v0
	v_mad_u64_u32 v[0:1], null, v4, 30, v[1:2]
	v_lshlrev_b32_e64 v10, v3, 1
	v_mov_b32_e32 v12, 0xffff
	v_and_b32_e32 v2, 30, v9
	v_lshlrev_b32_e64 v3, v3, 2
	s_waitcnt lgkmcnt(0)
	v_cvt_f32_f16_e32 v9, s4
	v_cvt_f32_ubyte0_e32 v5, v5
	v_cvt_f32_ubyte0_e32 v7, v7
	v_add_co_u32 v0, vcc_lo, v0, v2
	v_add_co_ci_u32_e64 v1, null, 0, v1, vcc_lo
	v_mov_b32_e32 v11, 15
	v_mul_f32_e32 v5, v9, v5
	v_mul_f32_e32 v7, v9, v7
	s_clause 0x1
	global_load_ushort v0, v[0:1], off offset:48
	global_load_ushort v1, v2, s[0:1] offset:16
	s_lshr_b32 s5, s4, 16
	v_cvt_f32_ubyte0_e32 v6, v6
	v_cvt_f32_f16_e32 v13, s5
	v_cvt_f32_ubyte0_e32 v8, v8
	v_lshlrev_b32_e32 v4, 7, v4
	s_lshl_b64 s[0:1], s[6:7], 9
	v_lshlrev_b32_e32 v2, 1, v2
	v_mul_f32_e32 v6, v13, v6
	s_add_u32 s0, s2, s0
	v_mul_f32_e32 v8, v13, v8
	s_addc_u32 s1, s3, s1
	v_add_co_u32 v4, s0, s0, v4
	v_add_co_ci_u32_e64 v14, null, s1, 0, s0
	s_waitcnt vmcnt(1)
	v_lshrrev_b16 v16, 4, v0
	s_waitcnt vmcnt(0)
	v_and_b32_sdwa v15, v10, v1 dst_sel:DWORD dst_unused:UNUSED_PAD src0_sel:DWORD src1_sel:BYTE_0
	v_and_b32_sdwa v12, v12, v1 dst_sel:DWORD dst_unused:UNUSED_PAD src0_sel:DWORD src1_sel:BYTE_1
	v_and_b32_sdwa v1, v3, v1 dst_sel:DWORD dst_unused:UNUSED_PAD src0_sel:DWORD src1_sel:BYTE_0
	v_and_b32_e32 v9, 15, v0
	v_and_b32_e32 v16, 15, v16
	v_cmp_eq_u32_e32 vcc_lo, 0, v15
	v_and_b32_e32 v10, v10, v12
	v_and_b32_e32 v3, v3, v12
	v_and_b32_sdwa v11, v0, v11 dst_sel:DWORD dst_unused:UNUSED_PAD src0_sel:BYTE_1 src1_sel:DWORD
	v_lshrrev_b16 v0, 12, v0
	v_cndmask_b32_e64 v15, 16, 0, vcc_lo
	v_cmp_eq_u32_e32 vcc_lo, 0, v1
	v_or_b32_e32 v9, v15, v9
	v_cndmask_b32_e64 v1, 16, 0, vcc_lo
	v_cmp_eq_u32_e32 vcc_lo, 0, v10
	v_cvt_f32_ubyte0_e32 v9, v9
	v_or_b32_e32 v1, v1, v16
	v_cndmask_b32_e64 v10, 16, 0, vcc_lo
	v_cmp_eq_u32_e32 vcc_lo, 0, v3
	v_cvt_f32_ubyte0_e32 v1, v1
	v_or_b32_e32 v10, v10, v11
	v_cndmask_b32_e64 v3, 16, 0, vcc_lo
	v_or_b32_e32 v0, v3, v0
	v_fma_mixlo_f16 v3, v5, v9, -v6
	v_cvt_f32_ubyte0_e32 v9, v10
	v_fma_mixlo_f16 v10, v7, v1, -v8
	v_cvt_f32_ubyte0_e32 v11, v0
	v_add_co_u32 v0, vcc_lo, v4, v2
	v_add_co_ci_u32_e64 v1, null, 0, v14, vcc_lo
	v_fma_mixhi_f16 v3, v5, v9, -v6
	v_fma_mixhi_f16 v10, v7, v11, -v8
	global_store_dword v[0:1], v3, off
	global_store_dword v[0:1], v10, off offset:64
	s_endpgm
	.section	.rodata,"a",@progbits
	.p2align	6, 0x0
	.amdhsa_kernel _ZL21dequantize_block_q5_KI6__halfEvPKvPT_
		.amdhsa_group_segment_fixed_size 0
		.amdhsa_private_segment_fixed_size 0
		.amdhsa_kernarg_size 16
		.amdhsa_user_sgpr_count 6
		.amdhsa_user_sgpr_private_segment_buffer 1
		.amdhsa_user_sgpr_dispatch_ptr 0
		.amdhsa_user_sgpr_queue_ptr 0
		.amdhsa_user_sgpr_kernarg_segment_ptr 1
		.amdhsa_user_sgpr_dispatch_id 0
		.amdhsa_user_sgpr_flat_scratch_init 0
		.amdhsa_user_sgpr_private_segment_size 0
		.amdhsa_wavefront_size32 1
		.amdhsa_uses_dynamic_stack 0
		.amdhsa_system_sgpr_private_segment_wavefront_offset 0
		.amdhsa_system_sgpr_workgroup_id_x 1
		.amdhsa_system_sgpr_workgroup_id_y 0
		.amdhsa_system_sgpr_workgroup_id_z 0
		.amdhsa_system_sgpr_workgroup_info 0
		.amdhsa_system_vgpr_workitem_id 0
		.amdhsa_next_free_vgpr 17
		.amdhsa_next_free_sgpr 8
		.amdhsa_reserve_vcc 1
		.amdhsa_reserve_flat_scratch 0
		.amdhsa_float_round_mode_32 0
		.amdhsa_float_round_mode_16_64 0
		.amdhsa_float_denorm_mode_32 3
		.amdhsa_float_denorm_mode_16_64 3
		.amdhsa_dx10_clamp 1
		.amdhsa_ieee_mode 1
		.amdhsa_fp16_overflow 0
		.amdhsa_workgroup_processor_mode 1
		.amdhsa_memory_ordered 1
		.amdhsa_forward_progress 1
		.amdhsa_shared_vgpr_count 0
		.amdhsa_exception_fp_ieee_invalid_op 0
		.amdhsa_exception_fp_denorm_src 0
		.amdhsa_exception_fp_ieee_div_zero 0
		.amdhsa_exception_fp_ieee_overflow 0
		.amdhsa_exception_fp_ieee_underflow 0
		.amdhsa_exception_fp_ieee_inexact 0
		.amdhsa_exception_int_div_zero 0
	.end_amdhsa_kernel
	.section	.text._ZL21dequantize_block_q5_KI6__halfEvPKvPT_,"axG",@progbits,_ZL21dequantize_block_q5_KI6__halfEvPKvPT_,comdat
.Lfunc_end7:
	.size	_ZL21dequantize_block_q5_KI6__halfEvPKvPT_, .Lfunc_end7-_ZL21dequantize_block_q5_KI6__halfEvPKvPT_
                                        ; -- End function
	.set _ZL21dequantize_block_q5_KI6__halfEvPKvPT_.num_vgpr, 17
	.set _ZL21dequantize_block_q5_KI6__halfEvPKvPT_.num_agpr, 0
	.set _ZL21dequantize_block_q5_KI6__halfEvPKvPT_.numbered_sgpr, 8
	.set _ZL21dequantize_block_q5_KI6__halfEvPKvPT_.num_named_barrier, 0
	.set _ZL21dequantize_block_q5_KI6__halfEvPKvPT_.private_seg_size, 0
	.set _ZL21dequantize_block_q5_KI6__halfEvPKvPT_.uses_vcc, 1
	.set _ZL21dequantize_block_q5_KI6__halfEvPKvPT_.uses_flat_scratch, 0
	.set _ZL21dequantize_block_q5_KI6__halfEvPKvPT_.has_dyn_sized_stack, 0
	.set _ZL21dequantize_block_q5_KI6__halfEvPKvPT_.has_recursion, 0
	.set _ZL21dequantize_block_q5_KI6__halfEvPKvPT_.has_indirect_call, 0
	.section	.AMDGPU.csdata,"",@progbits
; Kernel info:
; codeLenInByte = 756
; TotalNumSgprs: 10
; NumVgprs: 17
; ScratchSize: 0
; MemoryBound: 0
; FloatMode: 240
; IeeeMode: 1
; LDSByteSize: 0 bytes/workgroup (compile time only)
; SGPRBlocks: 0
; VGPRBlocks: 2
; NumSGPRsForWavesPerEU: 10
; NumVGPRsForWavesPerEU: 17
; Occupancy: 16
; WaveLimiterHint : 0
; COMPUTE_PGM_RSRC2:SCRATCH_EN: 0
; COMPUTE_PGM_RSRC2:USER_SGPR: 6
; COMPUTE_PGM_RSRC2:TRAP_HANDLER: 0
; COMPUTE_PGM_RSRC2:TGID_X_EN: 1
; COMPUTE_PGM_RSRC2:TGID_Y_EN: 0
; COMPUTE_PGM_RSRC2:TGID_Z_EN: 0
; COMPUTE_PGM_RSRC2:TIDIG_COMP_CNT: 0
	.section	.text._ZL21dequantize_block_q6_KI6__halfEvPKvPT_,"axG",@progbits,_ZL21dequantize_block_q6_KI6__halfEvPKvPT_,comdat
	.globl	_ZL21dequantize_block_q6_KI6__halfEvPKvPT_ ; -- Begin function _ZL21dequantize_block_q6_KI6__halfEvPKvPT_
	.p2align	8
	.type	_ZL21dequantize_block_q6_KI6__halfEvPKvPT_,@function
_ZL21dequantize_block_q6_KI6__halfEvPKvPT_: ; @_ZL21dequantize_block_q6_KI6__halfEvPKvPT_
; %bb.0:
	s_load_dwordx4 s[0:3], s[4:5], 0x0
	v_lshrrev_b32_e32 v4, 5, v0
	s_mov_b32 s7, 0
	v_mov_b32_e32 v1, 0
	s_lshl_b64 s[4:5], s[6:7], 9
	s_mul_hi_u32 s7, s6, 0xd2
	v_lshlrev_b32_e32 v3, 6, v4
	s_mulk_i32 s6, 0xd2
	v_mul_i32_i24_e32 v7, 0xffffffc8, v4
	v_mul_hi_i32_i24_e32 v6, 0xffffffc8, v4
	v_and_b32_e32 v5, 31, v0
	v_bfe_u32 v2, v0, 4, 1
	s_waitcnt lgkmcnt(0)
	s_add_u32 s2, s2, s4
	s_addc_u32 s3, s3, s5
	s_add_u32 s0, s0, s6
	s_addc_u32 s1, s1, s7
	v_add_co_u32 v3, s4, s0, v3
	v_add_co_ci_u32_e64 v8, null, s1, 0, s4
	s_clause 0x1
	global_load_ushort v9, v1, s[0:1] offset:208
	global_load_ubyte v10, v0, s[0:1] offset:128
	v_add_co_u32 v7, vcc_lo, v3, v7
	v_add_co_ci_u32_e64 v6, null, v8, v6, vcc_lo
	v_add_co_u32 v0, vcc_lo, v3, v5
	v_add_co_ci_u32_e64 v1, null, 0, v8, vcc_lo
	;; [unrolled: 2-line block ×3, first 2 shown]
	s_clause 0x5
	global_load_ubyte v6, v[0:1], off
	global_load_sbyte v7, v[2:3], off offset:192
	global_load_sbyte v8, v[2:3], off offset:194
	;; [unrolled: 1-line block ×4, first 2 shown]
	global_load_ubyte v0, v[0:1], off offset:32
	v_mov_b32_e32 v3, 32
	v_lshlrev_b32_e32 v1, 8, v4
	v_lshlrev_b32_e32 v4, 1, v5
	v_add_co_u32 v1, s0, s2, v1
	v_add_co_ci_u32_e64 v5, null, s3, 0, s0
	s_waitcnt vmcnt(7)
	v_cvt_f32_f16_e32 v9, v9
	s_waitcnt vmcnt(6)
	v_lshlrev_b16 v12, 4, v10
	v_lshlrev_b16 v13, 2, v10
	v_lshrrev_b16 v14, 2, v10
	v_and_b32_e32 v10, 48, v10
	v_and_b32_e32 v12, 48, v12
	;; [unrolled: 1-line block ×4, first 2 shown]
	s_waitcnt vmcnt(5)
	v_and_b32_e32 v15, 15, v6
	v_lshrrev_b16 v6, 4, v6
	s_waitcnt vmcnt(4)
	v_cvt_f32_i32_e32 v7, v7
	s_waitcnt vmcnt(2)
	v_cvt_f32_i32_e32 v11, v11
	v_cvt_f32_i32_e32 v8, v8
	v_or_b32_e32 v12, v15, v12
	s_waitcnt vmcnt(0)
	v_and_b32_e32 v15, 15, v0
	v_lshrrev_b16 v0, 4, v0
	v_or_b32_e32 v6, v6, v10
	v_cvt_f32_i32_e32 v2, v2
	v_sub_nc_u32_sdwa v10, v12, v3 dst_sel:DWORD dst_unused:UNUSED_PAD src0_sel:WORD_0 src1_sel:DWORD
	v_or_b32_e32 v12, v15, v13
	v_or_b32_e32 v0, v0, v14
	v_sub_nc_u32_sdwa v6, v6, v3 dst_sel:DWORD dst_unused:UNUSED_PAD src0_sel:WORD_0 src1_sel:DWORD
	v_mul_f32_e32 v7, v9, v7
	v_mul_f32_e32 v11, v9, v11
	v_sub_nc_u32_sdwa v12, v12, v3 dst_sel:DWORD dst_unused:UNUSED_PAD src0_sel:WORD_0 src1_sel:DWORD
	v_sub_nc_u32_sdwa v0, v0, v3 dst_sel:DWORD dst_unused:UNUSED_PAD src0_sel:WORD_0 src1_sel:DWORD
	v_cvt_f32_i32_e32 v3, v10
	v_cvt_f32_i32_e32 v6, v6
	v_mul_f32_e32 v8, v9, v8
	v_mul_f32_e32 v2, v9, v2
	v_cvt_f32_i32_e32 v9, v12
	v_cvt_f32_i32_e32 v10, v0
	v_add_co_u32 v0, vcc_lo, v1, v4
	v_add_co_ci_u32_e64 v1, null, 0, v5, vcc_lo
	v_fma_mixlo_f16 v3, v7, v3, 0
	v_fma_mixlo_f16 v4, v11, v6, 0
	;; [unrolled: 1-line block ×4, first 2 shown]
	global_store_short v[0:1], v3, off
	global_store_short v[0:1], v4, off offset:128
	global_store_short v[0:1], v5, off offset:64
	;; [unrolled: 1-line block ×3, first 2 shown]
	s_endpgm
	.section	.rodata,"a",@progbits
	.p2align	6, 0x0
	.amdhsa_kernel _ZL21dequantize_block_q6_KI6__halfEvPKvPT_
		.amdhsa_group_segment_fixed_size 0
		.amdhsa_private_segment_fixed_size 0
		.amdhsa_kernarg_size 16
		.amdhsa_user_sgpr_count 6
		.amdhsa_user_sgpr_private_segment_buffer 1
		.amdhsa_user_sgpr_dispatch_ptr 0
		.amdhsa_user_sgpr_queue_ptr 0
		.amdhsa_user_sgpr_kernarg_segment_ptr 1
		.amdhsa_user_sgpr_dispatch_id 0
		.amdhsa_user_sgpr_flat_scratch_init 0
		.amdhsa_user_sgpr_private_segment_size 0
		.amdhsa_wavefront_size32 1
		.amdhsa_uses_dynamic_stack 0
		.amdhsa_system_sgpr_private_segment_wavefront_offset 0
		.amdhsa_system_sgpr_workgroup_id_x 1
		.amdhsa_system_sgpr_workgroup_id_y 0
		.amdhsa_system_sgpr_workgroup_id_z 0
		.amdhsa_system_sgpr_workgroup_info 0
		.amdhsa_system_vgpr_workitem_id 0
		.amdhsa_next_free_vgpr 16
		.amdhsa_next_free_sgpr 8
		.amdhsa_reserve_vcc 1
		.amdhsa_reserve_flat_scratch 0
		.amdhsa_float_round_mode_32 0
		.amdhsa_float_round_mode_16_64 0
		.amdhsa_float_denorm_mode_32 3
		.amdhsa_float_denorm_mode_16_64 3
		.amdhsa_dx10_clamp 1
		.amdhsa_ieee_mode 1
		.amdhsa_fp16_overflow 0
		.amdhsa_workgroup_processor_mode 1
		.amdhsa_memory_ordered 1
		.amdhsa_forward_progress 1
		.amdhsa_shared_vgpr_count 0
		.amdhsa_exception_fp_ieee_invalid_op 0
		.amdhsa_exception_fp_denorm_src 0
		.amdhsa_exception_fp_ieee_div_zero 0
		.amdhsa_exception_fp_ieee_overflow 0
		.amdhsa_exception_fp_ieee_underflow 0
		.amdhsa_exception_fp_ieee_inexact 0
		.amdhsa_exception_int_div_zero 0
	.end_amdhsa_kernel
	.section	.text._ZL21dequantize_block_q6_KI6__halfEvPKvPT_,"axG",@progbits,_ZL21dequantize_block_q6_KI6__halfEvPKvPT_,comdat
.Lfunc_end8:
	.size	_ZL21dequantize_block_q6_KI6__halfEvPKvPT_, .Lfunc_end8-_ZL21dequantize_block_q6_KI6__halfEvPKvPT_
                                        ; -- End function
	.set _ZL21dequantize_block_q6_KI6__halfEvPKvPT_.num_vgpr, 16
	.set _ZL21dequantize_block_q6_KI6__halfEvPKvPT_.num_agpr, 0
	.set _ZL21dequantize_block_q6_KI6__halfEvPKvPT_.numbered_sgpr, 8
	.set _ZL21dequantize_block_q6_KI6__halfEvPKvPT_.num_named_barrier, 0
	.set _ZL21dequantize_block_q6_KI6__halfEvPKvPT_.private_seg_size, 0
	.set _ZL21dequantize_block_q6_KI6__halfEvPKvPT_.uses_vcc, 1
	.set _ZL21dequantize_block_q6_KI6__halfEvPKvPT_.uses_flat_scratch, 0
	.set _ZL21dequantize_block_q6_KI6__halfEvPKvPT_.has_dyn_sized_stack, 0
	.set _ZL21dequantize_block_q6_KI6__halfEvPKvPT_.has_recursion, 0
	.set _ZL21dequantize_block_q6_KI6__halfEvPKvPT_.has_indirect_call, 0
	.section	.AMDGPU.csdata,"",@progbits
; Kernel info:
; codeLenInByte = 524
; TotalNumSgprs: 10
; NumVgprs: 16
; ScratchSize: 0
; MemoryBound: 0
; FloatMode: 240
; IeeeMode: 1
; LDSByteSize: 0 bytes/workgroup (compile time only)
; SGPRBlocks: 0
; VGPRBlocks: 1
; NumSGPRsForWavesPerEU: 10
; NumVGPRsForWavesPerEU: 16
; Occupancy: 16
; WaveLimiterHint : 0
; COMPUTE_PGM_RSRC2:SCRATCH_EN: 0
; COMPUTE_PGM_RSRC2:USER_SGPR: 6
; COMPUTE_PGM_RSRC2:TRAP_HANDLER: 0
; COMPUTE_PGM_RSRC2:TGID_X_EN: 1
; COMPUTE_PGM_RSRC2:TGID_Y_EN: 0
; COMPUTE_PGM_RSRC2:TGID_Z_EN: 0
; COMPUTE_PGM_RSRC2:TIDIG_COMP_CNT: 0
	.section	.text._ZL24dequantize_block_iq2_xxsI6__halfEvPKvPT_,"axG",@progbits,_ZL24dequantize_block_iq2_xxsI6__halfEvPKvPT_,comdat
	.globl	_ZL24dequantize_block_iq2_xxsI6__halfEvPKvPT_ ; -- Begin function _ZL24dequantize_block_iq2_xxsI6__halfEvPKvPT_
	.p2align	8
	.type	_ZL24dequantize_block_iq2_xxsI6__halfEvPKvPT_,@function
_ZL24dequantize_block_iq2_xxsI6__halfEvPKvPT_: ; @_ZL24dequantize_block_iq2_xxsI6__halfEvPKvPT_
; %bb.0:
	s_load_dwordx4 s[0:3], s[4:5], 0x0
	v_and_b32_e32 v3, 7, v0
	s_mov_b32 s7, 0
	v_lshrrev_b32_e32 v4, 3, v0
	s_lshl_b64 s[4:5], s[6:7], 9
	s_mul_hi_u32 s7, s6, 0x42
	v_lshlrev_b32_e32 v5, 3, v3
	s_mulk_i32 s6, 0x42
	v_mov_b32_e32 v6, 0
	v_and_b32_e32 v0, 0x3f8, v0
	v_lshlrev_b32_e32 v3, 6, v3
	v_lshlrev_b32_e32 v0, 1, v0
	s_waitcnt lgkmcnt(0)
	s_add_u32 s4, s2, s4
	s_addc_u32 s5, s3, s5
	s_add_u32 s0, s0, s6
	s_addc_u32 s1, s1, s7
	v_add_co_u32 v1, s2, s0, v5
	v_add_co_ci_u32_e64 v2, null, s1, 0, s2
	v_add_co_u32 v1, vcc_lo, v1, v4
	v_add_co_ci_u32_e64 v2, null, 0, v2, vcc_lo
	s_clause 0x2
	global_load_ubyte v1, v[1:2], off offset:2
	global_load_ushort v6, v6, s[0:1]
	global_load_dword v5, v5, s[0:1] offset:6
	v_mul_u32_u24_e32 v2, 7, v4
	s_getpc_b64 s[0:1]
	s_add_u32 s0, s0, _ZL11iq2xxs_grid@rel32@lo+4
	s_addc_u32 s1, s1, _ZL11iq2xxs_grid@rel32@hi+12
	s_getpc_b64 s[2:3]
	s_add_u32 s2, s2, _ZL12ksigns_iq2xs@rel32@lo+4
	s_addc_u32 s3, s3, _ZL12ksigns_iq2xs@rel32@hi+12
	s_waitcnt vmcnt(2)
	v_lshlrev_b32_e32 v1, 3, v1
	s_waitcnt vmcnt(1)
	v_cvt_f32_f16_e32 v6, v6
	s_waitcnt vmcnt(0)
	v_bfe_u32 v4, v5, v2, 7
	v_lshrrev_b32_e32 v5, 28, v5
	global_load_dwordx2 v[1:2], v1, s[0:1]
	global_load_sbyte v7, v4, s[2:3]
	v_add_co_u32 v3, s0, s4, v3
	v_cvt_f32_ubyte0_e32 v5, v5
	v_add_f32_e32 v5, 0.5, v5
	v_mul_f32_e32 v5, v5, v6
	v_add_co_ci_u32_e64 v6, null, s5, 0, s0
	v_mul_f32_e32 v5, 0x3e800000, v5
	s_waitcnt vmcnt(1)
	v_cvt_f32_ubyte0_e32 v8, v1
	s_waitcnt vmcnt(0)
	v_and_b32_e32 v9, 1, v7
	v_cvt_f32_ubyte1_e32 v10, v1
	v_and_b32_e32 v11, 2, v7
	v_cvt_f32_ubyte2_e32 v12, v1
	v_cvt_f32_ubyte3_e32 v1, v1
	v_cvt_f32_ubyte0_e32 v15, v2
	v_cvt_f32_ubyte1_e32 v17, v2
	v_cvt_f32_ubyte2_e32 v19, v2
	v_cvt_f32_ubyte3_e32 v2, v2
	v_mul_f32_e32 v8, v5, v8
	v_cmp_eq_u16_e32 vcc_lo, 0, v9
	v_and_b32_e32 v13, 4, v7
	v_mul_f32_e32 v10, v5, v10
	v_mul_f32_e32 v12, v5, v12
	;; [unrolled: 1-line block ×7, first 2 shown]
	v_cndmask_b32_e64 v5, -v8, v8, vcc_lo
	v_cmp_eq_u16_e32 vcc_lo, 0, v11
	v_and_b32_e32 v14, 8, v7
	v_and_b32_e32 v16, 16, v7
	;; [unrolled: 1-line block ×3, first 2 shown]
	v_cndmask_b32_e64 v8, -v10, v10, vcc_lo
	v_cmp_eq_u16_e32 vcc_lo, 0, v13
	v_cvt_f16_f32_e32 v8, v8
	v_cndmask_b32_e64 v9, -v12, v12, vcc_lo
	v_cmp_eq_u16_e32 vcc_lo, 0, v14
	v_cvt_f16_f32_e32 v9, v9
	;; [unrolled: 3-line block ×3, first 2 shown]
	v_cndmask_b32_e64 v10, -v15, v15, vcc_lo
	v_cmp_eq_u16_e32 vcc_lo, 0, v18
	v_pack_b32_f16 v1, v9, v1
	v_cvt_f16_f32_e32 v10, v10
	v_cndmask_b32_e64 v11, -v17, v17, vcc_lo
	v_cmp_gt_u32_e32 vcc_lo, 64, v4
	v_cvt_f16_f32_e32 v11, v11
	v_cndmask_b32_e64 v4, -v19, v19, vcc_lo
	v_cmp_gt_i16_e32 vcc_lo, 0, v7
	v_cvt_f16_f32_e32 v7, v5
	v_cvt_f16_f32_e32 v12, v4
	v_cndmask_b32_e64 v2, v2, -v2, vcc_lo
	v_add_co_u32 v4, vcc_lo, v3, v0
	v_add_co_ci_u32_e64 v5, null, 0, v6, vcc_lo
	v_cvt_f16_f32_e32 v2, v2
	v_pack_b32_f16 v0, v7, v8
	v_pack_b32_f16 v3, v12, v2
	;; [unrolled: 1-line block ×3, first 2 shown]
	global_store_dwordx4 v[4:5], v[0:3], off
	s_endpgm
	.section	.rodata,"a",@progbits
	.p2align	6, 0x0
	.amdhsa_kernel _ZL24dequantize_block_iq2_xxsI6__halfEvPKvPT_
		.amdhsa_group_segment_fixed_size 0
		.amdhsa_private_segment_fixed_size 0
		.amdhsa_kernarg_size 16
		.amdhsa_user_sgpr_count 6
		.amdhsa_user_sgpr_private_segment_buffer 1
		.amdhsa_user_sgpr_dispatch_ptr 0
		.amdhsa_user_sgpr_queue_ptr 0
		.amdhsa_user_sgpr_kernarg_segment_ptr 1
		.amdhsa_user_sgpr_dispatch_id 0
		.amdhsa_user_sgpr_flat_scratch_init 0
		.amdhsa_user_sgpr_private_segment_size 0
		.amdhsa_wavefront_size32 1
		.amdhsa_uses_dynamic_stack 0
		.amdhsa_system_sgpr_private_segment_wavefront_offset 0
		.amdhsa_system_sgpr_workgroup_id_x 1
		.amdhsa_system_sgpr_workgroup_id_y 0
		.amdhsa_system_sgpr_workgroup_id_z 0
		.amdhsa_system_sgpr_workgroup_info 0
		.amdhsa_system_vgpr_workitem_id 0
		.amdhsa_next_free_vgpr 20
		.amdhsa_next_free_sgpr 8
		.amdhsa_reserve_vcc 1
		.amdhsa_reserve_flat_scratch 0
		.amdhsa_float_round_mode_32 0
		.amdhsa_float_round_mode_16_64 0
		.amdhsa_float_denorm_mode_32 3
		.amdhsa_float_denorm_mode_16_64 3
		.amdhsa_dx10_clamp 1
		.amdhsa_ieee_mode 1
		.amdhsa_fp16_overflow 0
		.amdhsa_workgroup_processor_mode 1
		.amdhsa_memory_ordered 1
		.amdhsa_forward_progress 1
		.amdhsa_shared_vgpr_count 0
		.amdhsa_exception_fp_ieee_invalid_op 0
		.amdhsa_exception_fp_denorm_src 0
		.amdhsa_exception_fp_ieee_div_zero 0
		.amdhsa_exception_fp_ieee_overflow 0
		.amdhsa_exception_fp_ieee_underflow 0
		.amdhsa_exception_fp_ieee_inexact 0
		.amdhsa_exception_int_div_zero 0
	.end_amdhsa_kernel
	.section	.text._ZL24dequantize_block_iq2_xxsI6__halfEvPKvPT_,"axG",@progbits,_ZL24dequantize_block_iq2_xxsI6__halfEvPKvPT_,comdat
.Lfunc_end9:
	.size	_ZL24dequantize_block_iq2_xxsI6__halfEvPKvPT_, .Lfunc_end9-_ZL24dequantize_block_iq2_xxsI6__halfEvPKvPT_
                                        ; -- End function
	.set _ZL24dequantize_block_iq2_xxsI6__halfEvPKvPT_.num_vgpr, 20
	.set _ZL24dequantize_block_iq2_xxsI6__halfEvPKvPT_.num_agpr, 0
	.set _ZL24dequantize_block_iq2_xxsI6__halfEvPKvPT_.numbered_sgpr, 8
	.set _ZL24dequantize_block_iq2_xxsI6__halfEvPKvPT_.num_named_barrier, 0
	.set _ZL24dequantize_block_iq2_xxsI6__halfEvPKvPT_.private_seg_size, 0
	.set _ZL24dequantize_block_iq2_xxsI6__halfEvPKvPT_.uses_vcc, 1
	.set _ZL24dequantize_block_iq2_xxsI6__halfEvPKvPT_.uses_flat_scratch, 0
	.set _ZL24dequantize_block_iq2_xxsI6__halfEvPKvPT_.has_dyn_sized_stack, 0
	.set _ZL24dequantize_block_iq2_xxsI6__halfEvPKvPT_.has_recursion, 0
	.set _ZL24dequantize_block_iq2_xxsI6__halfEvPKvPT_.has_indirect_call, 0
	.section	.AMDGPU.csdata,"",@progbits
; Kernel info:
; codeLenInByte = 552
; TotalNumSgprs: 10
; NumVgprs: 20
; ScratchSize: 0
; MemoryBound: 0
; FloatMode: 240
; IeeeMode: 1
; LDSByteSize: 0 bytes/workgroup (compile time only)
; SGPRBlocks: 0
; VGPRBlocks: 2
; NumSGPRsForWavesPerEU: 10
; NumVGPRsForWavesPerEU: 20
; Occupancy: 16
; WaveLimiterHint : 0
; COMPUTE_PGM_RSRC2:SCRATCH_EN: 0
; COMPUTE_PGM_RSRC2:USER_SGPR: 6
; COMPUTE_PGM_RSRC2:TRAP_HANDLER: 0
; COMPUTE_PGM_RSRC2:TGID_X_EN: 1
; COMPUTE_PGM_RSRC2:TGID_Y_EN: 0
; COMPUTE_PGM_RSRC2:TGID_Z_EN: 0
; COMPUTE_PGM_RSRC2:TIDIG_COMP_CNT: 0
	.section	.text._ZL23dequantize_block_iq2_xsI6__halfEvPKvPT_,"axG",@progbits,_ZL23dequantize_block_iq2_xsI6__halfEvPKvPT_,comdat
	.globl	_ZL23dequantize_block_iq2_xsI6__halfEvPKvPT_ ; -- Begin function _ZL23dequantize_block_iq2_xsI6__halfEvPKvPT_
	.p2align	8
	.type	_ZL23dequantize_block_iq2_xsI6__halfEvPKvPT_,@function
_ZL23dequantize_block_iq2_xsI6__halfEvPKvPT_: ; @_ZL23dequantize_block_iq2_xsI6__halfEvPKvPT_
; %bb.0:
	s_load_dwordx4 s[0:3], s[4:5], 0x0
	v_and_b32_e32 v5, 7, v0
	s_mov_b32 s7, 0
	v_lshrrev_b32_e32 v6, 2, v0
	s_lshl_b64 s[4:5], s[6:7], 9
	s_mul_hi_u32 s7, s6, 0x4a
	v_lshlrev_b32_e32 v1, 3, v5
	s_mulk_i32 s6, 0x4a
	v_and_b32_e32 v2, 0xfe, v6
	v_and_b32_e32 v0, 0x3f8, v0
	v_lshlrev_b32_e32 v0, 1, v0
	s_waitcnt lgkmcnt(0)
	s_add_u32 s4, s2, s4
	s_addc_u32 s5, s3, s5
	s_add_u32 s0, s0, s6
	s_addc_u32 s1, s1, s7
	v_add_co_u32 v1, s2, s0, v1
	v_add_co_ci_u32_e64 v3, null, s1, 0, s2
	v_add_co_u32 v1, vcc_lo, v1, v2
	v_add_co_ci_u32_e64 v2, null, 0, v3, vcc_lo
	global_load_ushort v7, v[1:2], off offset:2
	v_mov_b32_e32 v1, 0
	s_clause 0x1
	global_load_ushort v8, v1, s[0:1]
	global_load_ubyte v9, v5, s[0:1] offset:66
	v_mov_b32_e32 v1, 3
	s_getpc_b64 s[0:1]
	s_add_u32 s0, s0, _ZL10iq2xs_grid@rel32@lo+4
	s_addc_u32 s1, s1, _ZL10iq2xs_grid@rel32@hi+12
	s_getpc_b64 s[2:3]
	s_add_u32 s2, s2, _ZL12ksigns_iq2xs@rel32@lo+4
	s_addc_u32 s3, s3, _ZL12ksigns_iq2xs@rel32@hi+12
	v_lshlrev_b32_e32 v5, 6, v5
	s_waitcnt vmcnt(2)
	v_and_b32_e32 v2, 0x1ff, v7
	v_lshrrev_b16 v3, 9, v7
	v_lshlrev_b32_sdwa v1, v1, v2 dst_sel:DWORD dst_unused:UNUSED_PAD src0_sel:DWORD src1_sel:WORD_0
	v_and_b32_e32 v3, 0xffff, v3
	global_load_dwordx2 v[1:2], v1, s[0:1]
	v_add_co_u32 v3, s0, s2, v3
	v_add_co_ci_u32_e64 v4, null, s3, 0, s0
	v_add_co_u32 v5, s0, s4, v5
	global_load_sbyte v3, v[3:4], off
	v_and_b32_e32 v4, 0xfc, v6
	s_waitcnt vmcnt(3)
	v_cvt_f32_f16_e32 v6, v8
	s_waitcnt vmcnt(2)
	v_bfe_u32 v4, v9, v4, 4
	v_cvt_f32_ubyte0_e32 v4, v4
	v_add_f32_e32 v4, 0.5, v4
	v_mul_f32_e32 v4, v4, v6
	v_add_co_ci_u32_e64 v6, null, s5, 0, s0
	v_mul_f32_e32 v4, 0x3e800000, v4
	s_waitcnt vmcnt(1)
	v_cvt_f32_ubyte0_e32 v8, v1
	v_cvt_f32_ubyte1_e32 v9, v1
	v_cvt_f32_ubyte2_e32 v10, v1
	v_cvt_f32_ubyte3_e32 v1, v1
	v_cvt_f32_ubyte0_e32 v11, v2
	v_cvt_f32_ubyte1_e32 v12, v2
	v_cvt_f32_ubyte2_e32 v13, v2
	v_cvt_f32_ubyte3_e32 v2, v2
	s_waitcnt vmcnt(0)
	v_and_b32_e32 v14, 1, v3
	v_mul_f32_e32 v8, v4, v8
	v_and_b32_e32 v15, 2, v3
	v_mul_f32_e32 v9, v4, v9
	v_mul_f32_e32 v10, v4, v10
	v_cmp_eq_u16_e32 vcc_lo, 0, v14
	v_and_b32_e32 v16, 4, v3
	v_mul_f32_e32 v1, v4, v1
	v_mul_f32_e32 v11, v4, v11
	;; [unrolled: 1-line block ×5, first 2 shown]
	v_cndmask_b32_e64 v4, -v8, v8, vcc_lo
	v_cmp_eq_u16_e32 vcc_lo, 0, v15
	v_and_b32_e32 v17, 8, v3
	v_and_b32_e32 v18, 16, v3
	;; [unrolled: 1-line block ×3, first 2 shown]
	v_cndmask_b32_e64 v8, -v9, v9, vcc_lo
	v_cmp_eq_u16_e32 vcc_lo, 0, v16
	v_cvt_f16_f32_e32 v8, v8
	v_cndmask_b32_e64 v9, -v10, v10, vcc_lo
	v_cmp_eq_u16_e32 vcc_lo, 0, v17
	v_cvt_f16_f32_e32 v9, v9
	;; [unrolled: 3-line block ×3, first 2 shown]
	v_cndmask_b32_e64 v10, -v11, v11, vcc_lo
	v_cmp_eq_u16_e32 vcc_lo, 0, v19
	v_pack_b32_f16 v1, v9, v1
	v_cvt_f16_f32_e32 v10, v10
	v_cndmask_b32_e64 v11, -v12, v12, vcc_lo
	v_cmp_gt_i16_e32 vcc_lo, 0, v7
	v_cvt_f16_f32_e32 v12, v4
	v_cvt_f16_f32_e32 v11, v11
	v_cndmask_b32_e64 v7, v13, -v13, vcc_lo
	v_cmp_gt_i16_e32 vcc_lo, 0, v3
	v_cvt_f16_f32_e32 v3, v7
	v_cndmask_b32_e64 v2, v2, -v2, vcc_lo
	v_add_co_u32 v4, vcc_lo, v5, v0
	v_add_co_ci_u32_e64 v5, null, 0, v6, vcc_lo
	v_cvt_f16_f32_e32 v2, v2
	v_pack_b32_f16 v0, v12, v8
	v_pack_b32_f16 v3, v3, v2
	;; [unrolled: 1-line block ×3, first 2 shown]
	global_store_dwordx4 v[4:5], v[0:3], off
	s_endpgm
	.section	.rodata,"a",@progbits
	.p2align	6, 0x0
	.amdhsa_kernel _ZL23dequantize_block_iq2_xsI6__halfEvPKvPT_
		.amdhsa_group_segment_fixed_size 0
		.amdhsa_private_segment_fixed_size 0
		.amdhsa_kernarg_size 16
		.amdhsa_user_sgpr_count 6
		.amdhsa_user_sgpr_private_segment_buffer 1
		.amdhsa_user_sgpr_dispatch_ptr 0
		.amdhsa_user_sgpr_queue_ptr 0
		.amdhsa_user_sgpr_kernarg_segment_ptr 1
		.amdhsa_user_sgpr_dispatch_id 0
		.amdhsa_user_sgpr_flat_scratch_init 0
		.amdhsa_user_sgpr_private_segment_size 0
		.amdhsa_wavefront_size32 1
		.amdhsa_uses_dynamic_stack 0
		.amdhsa_system_sgpr_private_segment_wavefront_offset 0
		.amdhsa_system_sgpr_workgroup_id_x 1
		.amdhsa_system_sgpr_workgroup_id_y 0
		.amdhsa_system_sgpr_workgroup_id_z 0
		.amdhsa_system_sgpr_workgroup_info 0
		.amdhsa_system_vgpr_workitem_id 0
		.amdhsa_next_free_vgpr 20
		.amdhsa_next_free_sgpr 8
		.amdhsa_reserve_vcc 1
		.amdhsa_reserve_flat_scratch 0
		.amdhsa_float_round_mode_32 0
		.amdhsa_float_round_mode_16_64 0
		.amdhsa_float_denorm_mode_32 3
		.amdhsa_float_denorm_mode_16_64 3
		.amdhsa_dx10_clamp 1
		.amdhsa_ieee_mode 1
		.amdhsa_fp16_overflow 0
		.amdhsa_workgroup_processor_mode 1
		.amdhsa_memory_ordered 1
		.amdhsa_forward_progress 1
		.amdhsa_shared_vgpr_count 0
		.amdhsa_exception_fp_ieee_invalid_op 0
		.amdhsa_exception_fp_denorm_src 0
		.amdhsa_exception_fp_ieee_div_zero 0
		.amdhsa_exception_fp_ieee_overflow 0
		.amdhsa_exception_fp_ieee_underflow 0
		.amdhsa_exception_fp_ieee_inexact 0
		.amdhsa_exception_int_div_zero 0
	.end_amdhsa_kernel
	.section	.text._ZL23dequantize_block_iq2_xsI6__halfEvPKvPT_,"axG",@progbits,_ZL23dequantize_block_iq2_xsI6__halfEvPKvPT_,comdat
.Lfunc_end10:
	.size	_ZL23dequantize_block_iq2_xsI6__halfEvPKvPT_, .Lfunc_end10-_ZL23dequantize_block_iq2_xsI6__halfEvPKvPT_
                                        ; -- End function
	.set _ZL23dequantize_block_iq2_xsI6__halfEvPKvPT_.num_vgpr, 20
	.set _ZL23dequantize_block_iq2_xsI6__halfEvPKvPT_.num_agpr, 0
	.set _ZL23dequantize_block_iq2_xsI6__halfEvPKvPT_.numbered_sgpr, 8
	.set _ZL23dequantize_block_iq2_xsI6__halfEvPKvPT_.num_named_barrier, 0
	.set _ZL23dequantize_block_iq2_xsI6__halfEvPKvPT_.private_seg_size, 0
	.set _ZL23dequantize_block_iq2_xsI6__halfEvPKvPT_.uses_vcc, 1
	.set _ZL23dequantize_block_iq2_xsI6__halfEvPKvPT_.uses_flat_scratch, 0
	.set _ZL23dequantize_block_iq2_xsI6__halfEvPKvPT_.has_dyn_sized_stack, 0
	.set _ZL23dequantize_block_iq2_xsI6__halfEvPKvPT_.has_recursion, 0
	.set _ZL23dequantize_block_iq2_xsI6__halfEvPKvPT_.has_indirect_call, 0
	.section	.AMDGPU.csdata,"",@progbits
; Kernel info:
; codeLenInByte = 608
; TotalNumSgprs: 10
; NumVgprs: 20
; ScratchSize: 0
; MemoryBound: 0
; FloatMode: 240
; IeeeMode: 1
; LDSByteSize: 0 bytes/workgroup (compile time only)
; SGPRBlocks: 0
; VGPRBlocks: 2
; NumSGPRsForWavesPerEU: 10
; NumVGPRsForWavesPerEU: 20
; Occupancy: 16
; WaveLimiterHint : 0
; COMPUTE_PGM_RSRC2:SCRATCH_EN: 0
; COMPUTE_PGM_RSRC2:USER_SGPR: 6
; COMPUTE_PGM_RSRC2:TRAP_HANDLER: 0
; COMPUTE_PGM_RSRC2:TGID_X_EN: 1
; COMPUTE_PGM_RSRC2:TGID_Y_EN: 0
; COMPUTE_PGM_RSRC2:TGID_Z_EN: 0
; COMPUTE_PGM_RSRC2:TIDIG_COMP_CNT: 0
	.section	.text._ZL22dequantize_block_iq2_sI6__halfEvPKvPT_,"axG",@progbits,_ZL22dequantize_block_iq2_sI6__halfEvPKvPT_,comdat
	.globl	_ZL22dequantize_block_iq2_sI6__halfEvPKvPT_ ; -- Begin function _ZL22dequantize_block_iq2_sI6__halfEvPKvPT_
	.p2align	8
	.type	_ZL22dequantize_block_iq2_sI6__halfEvPKvPT_,@function
_ZL22dequantize_block_iq2_sI6__halfEvPKvPT_: ; @_ZL22dequantize_block_iq2_sI6__halfEvPKvPT_
; %bb.0:
	s_load_dwordx4 s[0:3], s[4:5], 0x0
	v_and_b32_e32 v3, 7, v0
	s_mov_b32 s7, 0
	v_lshrrev_b32_e32 v4, 3, v0
	s_lshl_b64 s[4:5], s[6:7], 9
	s_mul_hi_u32 s7, s6, 0x52
	v_lshlrev_b32_e32 v1, 2, v3
	s_mulk_i32 s6, 0x52
	s_waitcnt lgkmcnt(0)
	s_add_u32 s2, s2, s4
	s_addc_u32 s3, s3, s5
	s_add_u32 s0, s0, s6
	s_addc_u32 s1, s1, s7
	v_add_co_u32 v1, s4, s0, v1
	v_add_co_ci_u32_e64 v2, null, s1, 0, s4
	v_add_co_u32 v1, vcc_lo, v1, v4
	v_add_co_ci_u32_e64 v2, null, 0, v2, vcc_lo
	v_lshlrev_b32_e32 v4, 1, v4
	s_clause 0x3
	global_load_ubyte v5, v3, s[0:1] offset:66
	global_load_ubyte v6, v[1:2], off offset:2
	global_load_sbyte v7, v[1:2], off offset:34
	global_load_ubyte v8, v3, s[0:1] offset:74
	v_mov_b32_e32 v1, 0
	v_sub_nc_u32_e32 v2, 8, v4
	v_lshlrev_b32_e32 v3, 6, v3
	global_load_ushort v4, v1, s[0:1]
	s_getpc_b64 s[0:1]
	s_add_u32 s0, s0, _ZL9iq2s_grid@rel32@lo+4
	s_addc_u32 s1, s1, _ZL9iq2s_grid@rel32@hi+12
	s_waitcnt vmcnt(4)
	v_lshlrev_b32_e32 v1, v2, v5
	v_lshrrev_b32_e32 v5, 2, v0
	s_waitcnt vmcnt(2)
	v_and_b32_e32 v9, 2, v7
	v_and_b32_e32 v10, 4, v7
	v_and_b32_e32 v11, 16, v7
	v_and_or_b32 v1, 0x300, v1, v6
	v_and_b32_e32 v5, 0xfc, v5
	v_and_b32_e32 v12, 32, v7
	s_waitcnt vmcnt(0)
	v_cvt_f32_f16_e32 v4, v4
	v_and_b32_e32 v13, 64, v7
	v_lshlrev_b32_e32 v1, 3, v1
	v_bfe_u32 v5, v8, v5, 4
	v_and_b32_e32 v8, 1, v7
	v_and_b32_e32 v0, 0x3f8, v0
	global_load_dwordx2 v[1:2], v1, s[0:1]
	v_cvt_f32_ubyte0_e32 v5, v5
	v_cmp_eq_u16_e32 vcc_lo, 0, v8
	v_lshlrev_b32_e32 v0, 1, v0
	v_add_co_u32 v3, s0, s2, v3
	v_add_f32_e32 v5, 0.5, v5
	v_add_co_ci_u32_e64 v6, null, s3, 0, s0
	v_mul_f32_e32 v4, v5, v4
	v_and_b32_e32 v5, 8, v7
	v_mul_f32_e32 v4, 0x3e800000, v4
	s_waitcnt vmcnt(0)
	v_cvt_f32_ubyte0_e32 v14, v1
	v_cvt_f32_ubyte1_e32 v15, v1
	v_cvt_f32_ubyte2_e32 v16, v1
	v_cvt_f32_ubyte3_e32 v1, v1
	v_cvt_f32_ubyte0_e32 v17, v2
	v_cvt_f32_ubyte1_e32 v18, v2
	v_cvt_f32_ubyte2_e32 v19, v2
	v_cvt_f32_ubyte3_e32 v2, v2
	v_mul_f32_e32 v14, v4, v14
	v_mul_f32_e32 v15, v4, v15
	;; [unrolled: 1-line block ×8, first 2 shown]
	v_cndmask_b32_e64 v4, -v14, v14, vcc_lo
	v_cmp_eq_u16_e32 vcc_lo, 0, v9
	v_cndmask_b32_e64 v8, -v15, v15, vcc_lo
	v_cmp_eq_u16_e32 vcc_lo, 0, v10
	v_cvt_f16_f32_e32 v8, v8
	v_cndmask_b32_e64 v9, -v16, v16, vcc_lo
	v_cmp_eq_u16_e32 vcc_lo, 0, v5
	v_cvt_f16_f32_e32 v9, v9
	;; [unrolled: 3-line block ×3, first 2 shown]
	v_cndmask_b32_e64 v5, -v17, v17, vcc_lo
	v_cmp_eq_u16_e32 vcc_lo, 0, v12
	v_pack_b32_f16 v1, v9, v1
	v_cvt_f16_f32_e32 v12, v5
	v_cndmask_b32_e64 v10, -v18, v18, vcc_lo
	v_cmp_eq_u16_e32 vcc_lo, 0, v13
	v_cvt_f16_f32_e32 v10, v10
	v_cndmask_b32_e64 v11, -v19, v19, vcc_lo
	v_cmp_gt_i16_e32 vcc_lo, 0, v7
	v_cvt_f16_f32_e32 v7, v4
	v_cvt_f16_f32_e32 v11, v11
	v_cndmask_b32_e64 v2, v2, -v2, vcc_lo
	v_add_co_u32 v4, vcc_lo, v3, v0
	v_add_co_ci_u32_e64 v5, null, 0, v6, vcc_lo
	v_cvt_f16_f32_e32 v2, v2
	v_pack_b32_f16 v0, v7, v8
	v_pack_b32_f16 v3, v11, v2
	;; [unrolled: 1-line block ×3, first 2 shown]
	global_store_dwordx4 v[4:5], v[0:3], off
	s_endpgm
	.section	.rodata,"a",@progbits
	.p2align	6, 0x0
	.amdhsa_kernel _ZL22dequantize_block_iq2_sI6__halfEvPKvPT_
		.amdhsa_group_segment_fixed_size 0
		.amdhsa_private_segment_fixed_size 0
		.amdhsa_kernarg_size 16
		.amdhsa_user_sgpr_count 6
		.amdhsa_user_sgpr_private_segment_buffer 1
		.amdhsa_user_sgpr_dispatch_ptr 0
		.amdhsa_user_sgpr_queue_ptr 0
		.amdhsa_user_sgpr_kernarg_segment_ptr 1
		.amdhsa_user_sgpr_dispatch_id 0
		.amdhsa_user_sgpr_flat_scratch_init 0
		.amdhsa_user_sgpr_private_segment_size 0
		.amdhsa_wavefront_size32 1
		.amdhsa_uses_dynamic_stack 0
		.amdhsa_system_sgpr_private_segment_wavefront_offset 0
		.amdhsa_system_sgpr_workgroup_id_x 1
		.amdhsa_system_sgpr_workgroup_id_y 0
		.amdhsa_system_sgpr_workgroup_id_z 0
		.amdhsa_system_sgpr_workgroup_info 0
		.amdhsa_system_vgpr_workitem_id 0
		.amdhsa_next_free_vgpr 20
		.amdhsa_next_free_sgpr 8
		.amdhsa_reserve_vcc 1
		.amdhsa_reserve_flat_scratch 0
		.amdhsa_float_round_mode_32 0
		.amdhsa_float_round_mode_16_64 0
		.amdhsa_float_denorm_mode_32 3
		.amdhsa_float_denorm_mode_16_64 3
		.amdhsa_dx10_clamp 1
		.amdhsa_ieee_mode 1
		.amdhsa_fp16_overflow 0
		.amdhsa_workgroup_processor_mode 1
		.amdhsa_memory_ordered 1
		.amdhsa_forward_progress 1
		.amdhsa_shared_vgpr_count 0
		.amdhsa_exception_fp_ieee_invalid_op 0
		.amdhsa_exception_fp_denorm_src 0
		.amdhsa_exception_fp_ieee_div_zero 0
		.amdhsa_exception_fp_ieee_overflow 0
		.amdhsa_exception_fp_ieee_underflow 0
		.amdhsa_exception_fp_ieee_inexact 0
		.amdhsa_exception_int_div_zero 0
	.end_amdhsa_kernel
	.section	.text._ZL22dequantize_block_iq2_sI6__halfEvPKvPT_,"axG",@progbits,_ZL22dequantize_block_iq2_sI6__halfEvPKvPT_,comdat
.Lfunc_end11:
	.size	_ZL22dequantize_block_iq2_sI6__halfEvPKvPT_, .Lfunc_end11-_ZL22dequantize_block_iq2_sI6__halfEvPKvPT_
                                        ; -- End function
	.set _ZL22dequantize_block_iq2_sI6__halfEvPKvPT_.num_vgpr, 20
	.set _ZL22dequantize_block_iq2_sI6__halfEvPKvPT_.num_agpr, 0
	.set _ZL22dequantize_block_iq2_sI6__halfEvPKvPT_.numbered_sgpr, 8
	.set _ZL22dequantize_block_iq2_sI6__halfEvPKvPT_.num_named_barrier, 0
	.set _ZL22dequantize_block_iq2_sI6__halfEvPKvPT_.private_seg_size, 0
	.set _ZL22dequantize_block_iq2_sI6__halfEvPKvPT_.uses_vcc, 1
	.set _ZL22dequantize_block_iq2_sI6__halfEvPKvPT_.uses_flat_scratch, 0
	.set _ZL22dequantize_block_iq2_sI6__halfEvPKvPT_.has_dyn_sized_stack, 0
	.set _ZL22dequantize_block_iq2_sI6__halfEvPKvPT_.has_recursion, 0
	.set _ZL22dequantize_block_iq2_sI6__halfEvPKvPT_.has_indirect_call, 0
	.section	.AMDGPU.csdata,"",@progbits
; Kernel info:
; codeLenInByte = 568
; TotalNumSgprs: 10
; NumVgprs: 20
; ScratchSize: 0
; MemoryBound: 0
; FloatMode: 240
; IeeeMode: 1
; LDSByteSize: 0 bytes/workgroup (compile time only)
; SGPRBlocks: 0
; VGPRBlocks: 2
; NumSGPRsForWavesPerEU: 10
; NumVGPRsForWavesPerEU: 20
; Occupancy: 16
; WaveLimiterHint : 0
; COMPUTE_PGM_RSRC2:SCRATCH_EN: 0
; COMPUTE_PGM_RSRC2:USER_SGPR: 6
; COMPUTE_PGM_RSRC2:TRAP_HANDLER: 0
; COMPUTE_PGM_RSRC2:TGID_X_EN: 1
; COMPUTE_PGM_RSRC2:TGID_Y_EN: 0
; COMPUTE_PGM_RSRC2:TGID_Z_EN: 0
; COMPUTE_PGM_RSRC2:TIDIG_COMP_CNT: 0
	.section	.text._ZL24dequantize_block_iq3_xxsI6__halfEvPKvPT_,"axG",@progbits,_ZL24dequantize_block_iq3_xxsI6__halfEvPKvPT_,comdat
	.globl	_ZL24dequantize_block_iq3_xxsI6__halfEvPKvPT_ ; -- Begin function _ZL24dequantize_block_iq3_xxsI6__halfEvPKvPT_
	.p2align	8
	.type	_ZL24dequantize_block_iq3_xxsI6__halfEvPKvPT_,@function
_ZL24dequantize_block_iq3_xxsI6__halfEvPKvPT_: ; @_ZL24dequantize_block_iq3_xxsI6__halfEvPKvPT_
; %bb.0:
	s_load_dwordx4 s[0:3], s[4:5], 0x0
	v_and_b32_e32 v6, 7, v0
	s_mov_b32 s7, 0
	v_lshrrev_b32_e32 v7, 3, v0
	s_lshl_b64 s[4:5], s[6:7], 9
	s_mul_hi_u32 s7, s6, 0x62
	v_lshlrev_b32_e32 v1, 3, v6
	s_mulk_i32 s6, 0x62
	v_lshlrev_b32_e32 v2, 2, v6
	v_lshlrev_b32_e32 v3, 1, v7
	v_mov_b32_e32 v5, 0
	v_and_b32_e32 v0, 0x3f8, v0
	v_lshlrev_b32_e32 v6, 6, v6
	v_lshlrev_b32_e32 v0, 1, v0
	s_waitcnt lgkmcnt(0)
	s_add_u32 s4, s2, s4
	s_addc_u32 s5, s3, s5
	s_add_u32 s0, s0, s6
	s_addc_u32 s1, s1, s7
	v_add_co_u32 v4, s2, s0, v1
	v_add_co_ci_u32_e64 v8, null, s1, 0, s2
	v_sub_co_u32 v9, s2, 0, v2
	v_sub_co_ci_u32_e64 v10, null, 0, 0, s2
	v_add_co_u32 v1, vcc_lo, v4, v3
	v_add_co_ci_u32_e64 v2, null, 0, v8, vcc_lo
	v_add_co_u32 v3, vcc_lo, v4, v9
	v_add_co_ci_u32_e64 v4, null, v8, v10, vcc_lo
	s_clause 0x2
	global_load_ushort v1, v[1:2], off offset:2
	global_load_ushort v2, v5, s[0:1]
	global_load_dword v3, v[3:4], off offset:66
	v_mov_b32_e32 v4, 2
	v_mul_u32_u24_e32 v5, 7, v7
	v_mov_b32_e32 v7, 0xffff
	s_getpc_b64 s[0:1]
	s_add_u32 s0, s0, _ZL11iq3xxs_grid@rel32@lo+4
	s_addc_u32 s1, s1, _ZL11iq3xxs_grid@rel32@hi+12
	s_getpc_b64 s[2:3]
	s_add_u32 s2, s2, _ZL12ksigns_iq2xs@rel32@lo+4
	s_addc_u32 s3, s3, _ZL12ksigns_iq2xs@rel32@hi+12
	s_waitcnt vmcnt(2)
	v_lshlrev_b32_sdwa v4, v4, v1 dst_sel:DWORD dst_unused:UNUSED_PAD src0_sel:DWORD src1_sel:BYTE_0
	v_and_b32_sdwa v1, v7, v1 dst_sel:DWORD dst_unused:UNUSED_PAD src0_sel:DWORD src1_sel:BYTE_1
	s_waitcnt vmcnt(0)
	v_bfe_u32 v5, v3, v5, 7
	global_load_dword v4, v4, s[0:1]
	global_load_sbyte v7, v5, s[2:3]
	v_lshlrev_b32_e32 v1, 2, v1
	v_lshrrev_b32_e32 v3, 28, v3
	v_cvt_f32_f16_e32 v2, v2
	global_load_dword v1, v1, s[0:1]
	v_cvt_f32_ubyte0_e32 v3, v3
	v_add_f32_e32 v3, 0.5, v3
	v_mul_f32_e32 v2, v3, v2
	v_add_co_u32 v3, s0, s4, v6
	v_add_co_ci_u32_e64 v6, null, s5, 0, s0
	v_mul_f32_e32 v2, 0.5, v2
	s_waitcnt vmcnt(2)
	v_cvt_f32_ubyte0_e32 v8, v4
	s_waitcnt vmcnt(1)
	v_and_b32_e32 v9, 1, v7
	v_cvt_f32_ubyte1_e32 v11, v4
	v_and_b32_e32 v12, 2, v7
	v_cvt_f32_ubyte2_e32 v14, v4
	v_mul_f32_e32 v8, v2, v8
	v_cmp_eq_u16_e32 vcc_lo, 0, v9
	v_and_b32_e32 v15, 4, v7
	v_mul_f32_e32 v11, v2, v11
	v_cvt_f32_ubyte3_e32 v4, v4
	v_and_b32_e32 v16, 8, v7
	v_cndmask_b32_e64 v8, -v8, v8, vcc_lo
	v_cmp_eq_u16_e32 vcc_lo, 0, v12
	v_mul_f32_e32 v14, v2, v14
	v_and_b32_e32 v10, 16, v7
	s_waitcnt vmcnt(0)
	v_cvt_f32_ubyte0_e32 v17, v1
	v_mul_f32_e32 v4, v2, v4
	v_cndmask_b32_e64 v11, -v11, v11, vcc_lo
	v_cmp_eq_u16_e32 vcc_lo, 0, v15
	v_and_b32_e32 v13, 32, v7
	v_cvt_f32_ubyte1_e32 v18, v1
	v_cvt_f32_ubyte2_e32 v19, v1
	v_cvt_f32_ubyte3_e32 v1, v1
	v_cndmask_b32_e64 v14, -v14, v14, vcc_lo
	v_cmp_eq_u16_e32 vcc_lo, 0, v16
	v_mul_f32_e32 v9, v2, v17
	v_mul_f32_e32 v12, v2, v18
	;; [unrolled: 1-line block ×4, first 2 shown]
	v_cndmask_b32_e64 v4, -v4, v4, vcc_lo
	v_cmp_eq_u16_e32 vcc_lo, 0, v10
	v_cvt_f16_f32_e32 v8, v8
	v_cndmask_b32_e64 v2, -v9, v9, vcc_lo
	v_cmp_eq_u16_e32 vcc_lo, 0, v13
	v_cvt_f16_f32_e32 v9, v11
	v_cvt_f16_f32_e32 v11, v14
	;; [unrolled: 1-line block ×3, first 2 shown]
	v_cndmask_b32_e64 v10, -v12, v12, vcc_lo
	v_cmp_gt_u32_e32 vcc_lo, 64, v5
	v_cvt_f16_f32_e32 v10, v10
	v_cndmask_b32_e64 v5, -v15, v15, vcc_lo
	v_cmp_gt_i16_e32 vcc_lo, 0, v7
	v_cvt_f16_f32_e32 v7, v4
	v_pack_b32_f16 v2, v2, v10
	v_cvt_f16_f32_e32 v12, v5
	v_cndmask_b32_e64 v1, v1, -v1, vcc_lo
	v_add_co_u32 v4, vcc_lo, v3, v0
	v_add_co_ci_u32_e64 v5, null, 0, v6, vcc_lo
	v_cvt_f16_f32_e32 v13, v1
	v_pack_b32_f16 v1, v11, v7
	v_pack_b32_f16 v0, v8, v9
	;; [unrolled: 1-line block ×3, first 2 shown]
	global_store_dwordx4 v[4:5], v[0:3], off
	s_endpgm
	.section	.rodata,"a",@progbits
	.p2align	6, 0x0
	.amdhsa_kernel _ZL24dequantize_block_iq3_xxsI6__halfEvPKvPT_
		.amdhsa_group_segment_fixed_size 0
		.amdhsa_private_segment_fixed_size 0
		.amdhsa_kernarg_size 16
		.amdhsa_user_sgpr_count 6
		.amdhsa_user_sgpr_private_segment_buffer 1
		.amdhsa_user_sgpr_dispatch_ptr 0
		.amdhsa_user_sgpr_queue_ptr 0
		.amdhsa_user_sgpr_kernarg_segment_ptr 1
		.amdhsa_user_sgpr_dispatch_id 0
		.amdhsa_user_sgpr_flat_scratch_init 0
		.amdhsa_user_sgpr_private_segment_size 0
		.amdhsa_wavefront_size32 1
		.amdhsa_uses_dynamic_stack 0
		.amdhsa_system_sgpr_private_segment_wavefront_offset 0
		.amdhsa_system_sgpr_workgroup_id_x 1
		.amdhsa_system_sgpr_workgroup_id_y 0
		.amdhsa_system_sgpr_workgroup_id_z 0
		.amdhsa_system_sgpr_workgroup_info 0
		.amdhsa_system_vgpr_workitem_id 0
		.amdhsa_next_free_vgpr 20
		.amdhsa_next_free_sgpr 8
		.amdhsa_reserve_vcc 1
		.amdhsa_reserve_flat_scratch 0
		.amdhsa_float_round_mode_32 0
		.amdhsa_float_round_mode_16_64 0
		.amdhsa_float_denorm_mode_32 3
		.amdhsa_float_denorm_mode_16_64 3
		.amdhsa_dx10_clamp 1
		.amdhsa_ieee_mode 1
		.amdhsa_fp16_overflow 0
		.amdhsa_workgroup_processor_mode 1
		.amdhsa_memory_ordered 1
		.amdhsa_forward_progress 1
		.amdhsa_shared_vgpr_count 0
		.amdhsa_exception_fp_ieee_invalid_op 0
		.amdhsa_exception_fp_denorm_src 0
		.amdhsa_exception_fp_ieee_div_zero 0
		.amdhsa_exception_fp_ieee_overflow 0
		.amdhsa_exception_fp_ieee_underflow 0
		.amdhsa_exception_fp_ieee_inexact 0
		.amdhsa_exception_int_div_zero 0
	.end_amdhsa_kernel
	.section	.text._ZL24dequantize_block_iq3_xxsI6__halfEvPKvPT_,"axG",@progbits,_ZL24dequantize_block_iq3_xxsI6__halfEvPKvPT_,comdat
.Lfunc_end12:
	.size	_ZL24dequantize_block_iq3_xxsI6__halfEvPKvPT_, .Lfunc_end12-_ZL24dequantize_block_iq3_xxsI6__halfEvPKvPT_
                                        ; -- End function
	.set _ZL24dequantize_block_iq3_xxsI6__halfEvPKvPT_.num_vgpr, 20
	.set _ZL24dequantize_block_iq3_xxsI6__halfEvPKvPT_.num_agpr, 0
	.set _ZL24dequantize_block_iq3_xxsI6__halfEvPKvPT_.numbered_sgpr, 8
	.set _ZL24dequantize_block_iq3_xxsI6__halfEvPKvPT_.num_named_barrier, 0
	.set _ZL24dequantize_block_iq3_xxsI6__halfEvPKvPT_.private_seg_size, 0
	.set _ZL24dequantize_block_iq3_xxsI6__halfEvPKvPT_.uses_vcc, 1
	.set _ZL24dequantize_block_iq3_xxsI6__halfEvPKvPT_.uses_flat_scratch, 0
	.set _ZL24dequantize_block_iq3_xxsI6__halfEvPKvPT_.has_dyn_sized_stack, 0
	.set _ZL24dequantize_block_iq3_xxsI6__halfEvPKvPT_.has_recursion, 0
	.set _ZL24dequantize_block_iq3_xxsI6__halfEvPKvPT_.has_indirect_call, 0
	.section	.AMDGPU.csdata,"",@progbits
; Kernel info:
; codeLenInByte = 624
; TotalNumSgprs: 10
; NumVgprs: 20
; ScratchSize: 0
; MemoryBound: 0
; FloatMode: 240
; IeeeMode: 1
; LDSByteSize: 0 bytes/workgroup (compile time only)
; SGPRBlocks: 0
; VGPRBlocks: 2
; NumSGPRsForWavesPerEU: 10
; NumVGPRsForWavesPerEU: 20
; Occupancy: 16
; WaveLimiterHint : 0
; COMPUTE_PGM_RSRC2:SCRATCH_EN: 0
; COMPUTE_PGM_RSRC2:USER_SGPR: 6
; COMPUTE_PGM_RSRC2:TRAP_HANDLER: 0
; COMPUTE_PGM_RSRC2:TGID_X_EN: 1
; COMPUTE_PGM_RSRC2:TGID_Y_EN: 0
; COMPUTE_PGM_RSRC2:TGID_Z_EN: 0
; COMPUTE_PGM_RSRC2:TIDIG_COMP_CNT: 0
	.section	.text._ZL22dequantize_block_iq1_sI6__halfEvPKvPT_,"axG",@progbits,_ZL22dequantize_block_iq1_sI6__halfEvPKvPT_,comdat
	.globl	_ZL22dequantize_block_iq1_sI6__halfEvPKvPT_ ; -- Begin function _ZL22dequantize_block_iq1_sI6__halfEvPKvPT_
	.p2align	8
	.type	_ZL22dequantize_block_iq1_sI6__halfEvPKvPT_,@function
_ZL22dequantize_block_iq1_sI6__halfEvPKvPT_: ; @_ZL22dequantize_block_iq1_sI6__halfEvPKvPT_
; %bb.0:
	s_load_dwordx4 s[0:3], s[4:5], 0x0
	v_and_b32_e32 v3, 7, v0
	s_mov_b32 s7, 0
	v_lshrrev_b32_e32 v4, 3, v0
	s_lshl_b64 s[4:5], s[6:7], 9
	s_mul_hi_u32 s7, s6, 50
	v_lshlrev_b32_e32 v1, 1, v3
	s_mul_i32 s6, s6, 50
	v_and_b32_e32 v0, 0x3f8, v0
	v_lshlrev_b32_e32 v3, 6, v3
	v_lshlrev_b32_e32 v7, 1, v0
	s_waitcnt lgkmcnt(0)
	s_add_u32 s2, s2, s4
	s_addc_u32 s3, s3, s5
	s_add_u32 s0, s0, s6
	s_addc_u32 s1, s1, s7
	v_add_co_u32 v2, s4, s0, v1
	v_add_co_ci_u32_e64 v5, null, s1, 0, s4
	global_load_ushort v6, v1, s[0:1] offset:34
	v_add_co_u32 v1, vcc_lo, v2, v1
	v_add_co_ci_u32_e64 v2, null, 0, v5, vcc_lo
	v_mov_b32_e32 v5, 0xbf600000
	v_add_co_u32 v1, vcc_lo, v1, v4
	v_add_co_ci_u32_e64 v2, null, 0, v2, vcc_lo
	global_load_ubyte v1, v[1:2], off offset:2
	v_mul_u32_u24_e32 v2, 3, v4
	v_mov_b32_e32 v4, 0
	s_waitcnt vmcnt(1)
	v_lshrrev_b32_sdwa v2, v2, v6 dst_sel:DWORD dst_unused:UNUSED_PAD src0_sel:DWORD src1_sel:WORD_0
	v_cmp_lt_i16_e32 vcc_lo, -1, v6
	v_lshlrev_b32_e32 v2, 8, v2
	s_waitcnt vmcnt(0)
	v_and_or_b32 v1, 0x700, v2, v1
	global_load_ushort v2, v4, s[0:1]
	s_getpc_b64 s[0:1]
	s_add_u32 s0, s0, _ZL13iq1s_grid_gpu@rel32@lo+4
	s_addc_u32 s1, s1, _ZL13iq1s_grid_gpu@rel32@hi+12
	v_lshrrev_b16 v4, 11, v6
	v_lshlrev_b32_e32 v1, 2, v1
	v_and_b32_e32 v4, 14, v4
	global_load_dword v1, v1, s[0:1]
	v_or_b32_e32 v4, 1, v4
	s_waitcnt vmcnt(1)
	v_cvt_f32_f16_e32 v0, v2
	v_cvt_f32_ubyte0_e32 v2, v4
	v_add_co_u32 v4, s0, s2, v3
	v_cndmask_b32_e32 v3, 0xbf900000, v5, vcc_lo
	v_add_co_ci_u32_e64 v8, null, s3, 0, s0
	v_mul_f32_e32 v6, v0, v2
	v_add_co_u32 v4, vcc_lo, v4, v7
	s_waitcnt vmcnt(0)
	v_and_b32_e32 v2, 15, v1
	v_bfe_u32 v5, v1, 8, 4
	v_bfe_u32 v9, v1, 16, 4
	;; [unrolled: 1-line block ×4, first 2 shown]
	v_and_b32_e32 v0, 0xf000000, v1
	v_bfe_u32 v11, v1, 12, 4
	v_lshrrev_b32_e32 v1, 28, v1
	v_cvt_f32_ubyte0_e32 v2, v2
	v_cvt_f32_ubyte0_e32 v5, v5
	;; [unrolled: 1-line block ×5, first 2 shown]
	v_cvt_f32_ubyte3_e32 v0, v0
	v_cvt_f32_ubyte0_e32 v11, v11
	v_cvt_f32_ubyte0_e32 v1, v1
	v_add_f32_e32 v2, v3, v2
	v_add_f32_e32 v13, v3, v5
	;; [unrolled: 1-line block ×8, first 2 shown]
	v_fma_mixlo_f16 v0, v6, v2, 0
	v_fma_mixlo_f16 v1, v6, v5, 0
	;; [unrolled: 1-line block ×4, first 2 shown]
	v_add_co_ci_u32_e64 v5, null, 0, v8, vcc_lo
	v_fma_mixhi_f16 v1, v6, v9, 0
	v_fma_mixhi_f16 v2, v6, v11, 0
	;; [unrolled: 1-line block ×4, first 2 shown]
	global_store_dwordx4 v[4:5], v[0:3], off
	s_endpgm
	.section	.rodata,"a",@progbits
	.p2align	6, 0x0
	.amdhsa_kernel _ZL22dequantize_block_iq1_sI6__halfEvPKvPT_
		.amdhsa_group_segment_fixed_size 0
		.amdhsa_private_segment_fixed_size 0
		.amdhsa_kernarg_size 16
		.amdhsa_user_sgpr_count 6
		.amdhsa_user_sgpr_private_segment_buffer 1
		.amdhsa_user_sgpr_dispatch_ptr 0
		.amdhsa_user_sgpr_queue_ptr 0
		.amdhsa_user_sgpr_kernarg_segment_ptr 1
		.amdhsa_user_sgpr_dispatch_id 0
		.amdhsa_user_sgpr_flat_scratch_init 0
		.amdhsa_user_sgpr_private_segment_size 0
		.amdhsa_wavefront_size32 1
		.amdhsa_uses_dynamic_stack 0
		.amdhsa_system_sgpr_private_segment_wavefront_offset 0
		.amdhsa_system_sgpr_workgroup_id_x 1
		.amdhsa_system_sgpr_workgroup_id_y 0
		.amdhsa_system_sgpr_workgroup_id_z 0
		.amdhsa_system_sgpr_workgroup_info 0
		.amdhsa_system_vgpr_workitem_id 0
		.amdhsa_next_free_vgpr 15
		.amdhsa_next_free_sgpr 8
		.amdhsa_reserve_vcc 1
		.amdhsa_reserve_flat_scratch 0
		.amdhsa_float_round_mode_32 0
		.amdhsa_float_round_mode_16_64 0
		.amdhsa_float_denorm_mode_32 3
		.amdhsa_float_denorm_mode_16_64 3
		.amdhsa_dx10_clamp 1
		.amdhsa_ieee_mode 1
		.amdhsa_fp16_overflow 0
		.amdhsa_workgroup_processor_mode 1
		.amdhsa_memory_ordered 1
		.amdhsa_forward_progress 1
		.amdhsa_shared_vgpr_count 0
		.amdhsa_exception_fp_ieee_invalid_op 0
		.amdhsa_exception_fp_denorm_src 0
		.amdhsa_exception_fp_ieee_div_zero 0
		.amdhsa_exception_fp_ieee_overflow 0
		.amdhsa_exception_fp_ieee_underflow 0
		.amdhsa_exception_fp_ieee_inexact 0
		.amdhsa_exception_int_div_zero 0
	.end_amdhsa_kernel
	.section	.text._ZL22dequantize_block_iq1_sI6__halfEvPKvPT_,"axG",@progbits,_ZL22dequantize_block_iq1_sI6__halfEvPKvPT_,comdat
.Lfunc_end13:
	.size	_ZL22dequantize_block_iq1_sI6__halfEvPKvPT_, .Lfunc_end13-_ZL22dequantize_block_iq1_sI6__halfEvPKvPT_
                                        ; -- End function
	.set _ZL22dequantize_block_iq1_sI6__halfEvPKvPT_.num_vgpr, 15
	.set _ZL22dequantize_block_iq1_sI6__halfEvPKvPT_.num_agpr, 0
	.set _ZL22dequantize_block_iq1_sI6__halfEvPKvPT_.numbered_sgpr, 8
	.set _ZL22dequantize_block_iq1_sI6__halfEvPKvPT_.num_named_barrier, 0
	.set _ZL22dequantize_block_iq1_sI6__halfEvPKvPT_.private_seg_size, 0
	.set _ZL22dequantize_block_iq1_sI6__halfEvPKvPT_.uses_vcc, 1
	.set _ZL22dequantize_block_iq1_sI6__halfEvPKvPT_.uses_flat_scratch, 0
	.set _ZL22dequantize_block_iq1_sI6__halfEvPKvPT_.has_dyn_sized_stack, 0
	.set _ZL22dequantize_block_iq1_sI6__halfEvPKvPT_.has_recursion, 0
	.set _ZL22dequantize_block_iq1_sI6__halfEvPKvPT_.has_indirect_call, 0
	.section	.AMDGPU.csdata,"",@progbits
; Kernel info:
; codeLenInByte = 500
; TotalNumSgprs: 10
; NumVgprs: 15
; ScratchSize: 0
; MemoryBound: 0
; FloatMode: 240
; IeeeMode: 1
; LDSByteSize: 0 bytes/workgroup (compile time only)
; SGPRBlocks: 0
; VGPRBlocks: 1
; NumSGPRsForWavesPerEU: 10
; NumVGPRsForWavesPerEU: 15
; Occupancy: 16
; WaveLimiterHint : 0
; COMPUTE_PGM_RSRC2:SCRATCH_EN: 0
; COMPUTE_PGM_RSRC2:USER_SGPR: 6
; COMPUTE_PGM_RSRC2:TRAP_HANDLER: 0
; COMPUTE_PGM_RSRC2:TGID_X_EN: 1
; COMPUTE_PGM_RSRC2:TGID_Y_EN: 0
; COMPUTE_PGM_RSRC2:TGID_Z_EN: 0
; COMPUTE_PGM_RSRC2:TIDIG_COMP_CNT: 0
	.section	.text._ZL22dequantize_block_iq1_mI6__halfEvPKvPT_,"axG",@progbits,_ZL22dequantize_block_iq1_mI6__halfEvPKvPT_,comdat
	.globl	_ZL22dequantize_block_iq1_mI6__halfEvPKvPT_ ; -- Begin function _ZL22dequantize_block_iq1_mI6__halfEvPKvPT_
	.p2align	8
	.type	_ZL22dequantize_block_iq1_mI6__halfEvPKvPT_,@function
_ZL22dequantize_block_iq1_mI6__halfEvPKvPT_: ; @_ZL22dequantize_block_iq1_mI6__halfEvPKvPT_
; %bb.0:
	s_load_dwordx4 s[0:3], s[4:5], 0x0
	v_and_b32_e32 v5, 7, v0
	s_mov_b32 s7, 0
	v_lshrrev_b32_e32 v1, 3, v0
	s_lshl_b64 s[4:5], s[6:7], 9
	s_mul_hi_u32 s7, s6, 56
	v_lshlrev_b32_e32 v2, 2, v5
	s_mul_i32 s6, s6, 56
	v_lshrrev_b32_e32 v3, 4, v0
	v_lshlrev_b32_e32 v6, 1, v5
	v_add_nc_u32_e32 v7, v6, v3
	s_waitcnt lgkmcnt(0)
	s_add_u32 s2, s2, s4
	s_addc_u32 s3, s3, s5
	s_add_u32 s0, s0, s6
	s_addc_u32 s1, s1, s7
	v_add_co_u32 v2, s4, s0, v2
	v_add_co_ci_u32_e64 v4, null, s1, 0, s4
	v_add_co_u32 v1, vcc_lo, v2, v1
	v_add_co_ci_u32_e64 v2, null, 0, v4, vcc_lo
	s_clause 0x1
	global_load_ubyte v8, v[1:2], off
	global_load_ubyte v9, v7, s[0:1] offset:32
	v_add_nc_u16 v1, v6, v3
	v_mov_b32_e32 v2, 0
	v_lshrrev_b32_e32 v6, 1, v0
	v_and_b32_e32 v7, 3, v7
	v_and_b32_e32 v0, 0x3f8, v0
	v_lshrrev_b16 v1, 1, v1
	v_and_b32_e32 v6, 4, v6
	v_and_b32_e32 v3, 62, v1
	global_load_dwordx2 v[1:2], v2, s[0:1] offset:48
	v_add_co_u32 v3, s0, s0, v3
	v_add_co_ci_u32_e64 v4, null, s1, 0, s0
	s_getpc_b64 s[0:1]
	s_add_u32 s0, s0, _ZL13iq1s_grid_gpu@rel32@lo+4
	s_addc_u32 s1, s1, _ZL13iq1s_grid_gpu@rel32@hi+12
	global_load_ushort v3, v[3:4], off offset:48
	s_waitcnt vmcnt(2)
	v_lshrrev_b32_e32 v4, v6, v9
	v_lshlrev_b32_e32 v6, 8, v4
	v_and_or_b32 v6, 0x700, v6, v8
	v_mov_b32_e32 v8, 0xbf600000
	v_lshlrev_b32_e32 v6, 2, v6
	global_load_dword v6, v6, s[0:1]
	s_waitcnt vmcnt(2)
	v_readfirstlane_b32 s0, v2
	v_mul_u32_u24_e32 v2, 3, v7
	v_readfirstlane_b32 s1, v1
	v_lshlrev_b32_e32 v1, 6, v5
	v_lshlrev_b32_e32 v5, 1, v0
	s_lshr_b32 s4, s0, 16
	s_waitcnt vmcnt(1)
	v_lshrrev_b32_e32 v2, v2, v3
	s_bfe_u32 s5, s1, 0x4000c
	s_lshr_b32 s1, s1, 24
	s_lshr_b32 s0, s0, 4
	s_and_b32 s1, s1, 0xf0
	v_lshlrev_b32_e32 v2, 1, v2
	s_and_b32 s0, s0, 0xf00
	s_or_b32 s1, s1, s5
	v_and_b32_e32 v3, 8, v4
	s_and_b32 s4, s4, 0xf000
	v_and_or_b32 v2, v2, 14, 1
	s_or_b32 s0, s1, s0
	s_or_b32 s0, s0, s4
	v_cmp_eq_u32_e32 vcc_lo, 0, v3
	v_cvt_f32_f16_e32 v0, s0
	v_cvt_f32_ubyte0_e32 v2, v2
	v_add_co_u32 v4, s0, s2, v1
	v_cndmask_b32_e32 v1, 0xbf900000, v8, vcc_lo
	v_add_co_ci_u32_e64 v7, null, s3, 0, s0
	v_mul_f32_e32 v8, v0, v2
	v_add_co_u32 v4, vcc_lo, v4, v5
	v_add_co_ci_u32_e64 v5, null, 0, v7, vcc_lo
	s_waitcnt vmcnt(0)
	v_and_b32_e32 v2, 15, v6
	v_bfe_u32 v3, v6, 8, 4
	v_bfe_u32 v9, v6, 16, 4
	;; [unrolled: 1-line block ×4, first 2 shown]
	v_and_b32_e32 v0, 0xf000000, v6
	v_bfe_u32 v11, v6, 12, 4
	v_lshrrev_b32_e32 v6, 28, v6
	v_cvt_f32_ubyte0_e32 v2, v2
	v_cvt_f32_ubyte0_e32 v3, v3
	;; [unrolled: 1-line block ×5, first 2 shown]
	v_cvt_f32_ubyte3_e32 v0, v0
	v_cvt_f32_ubyte0_e32 v11, v11
	v_cvt_f32_ubyte0_e32 v6, v6
	v_add_f32_e32 v2, v1, v2
	v_add_f32_e32 v13, v1, v3
	;; [unrolled: 1-line block ×8, first 2 shown]
	v_fma_mixlo_f16 v0, v8, v2, 0
	v_fma_mixlo_f16 v1, v8, v3, 0
	;; [unrolled: 1-line block ×4, first 2 shown]
	v_fma_mixhi_f16 v0, v8, v13, 0
	v_fma_mixhi_f16 v1, v8, v9, 0
	;; [unrolled: 1-line block ×4, first 2 shown]
	global_store_dwordx4 v[4:5], v[0:3], off
	s_endpgm
	.section	.rodata,"a",@progbits
	.p2align	6, 0x0
	.amdhsa_kernel _ZL22dequantize_block_iq1_mI6__halfEvPKvPT_
		.amdhsa_group_segment_fixed_size 0
		.amdhsa_private_segment_fixed_size 0
		.amdhsa_kernarg_size 16
		.amdhsa_user_sgpr_count 6
		.amdhsa_user_sgpr_private_segment_buffer 1
		.amdhsa_user_sgpr_dispatch_ptr 0
		.amdhsa_user_sgpr_queue_ptr 0
		.amdhsa_user_sgpr_kernarg_segment_ptr 1
		.amdhsa_user_sgpr_dispatch_id 0
		.amdhsa_user_sgpr_flat_scratch_init 0
		.amdhsa_user_sgpr_private_segment_size 0
		.amdhsa_wavefront_size32 1
		.amdhsa_uses_dynamic_stack 0
		.amdhsa_system_sgpr_private_segment_wavefront_offset 0
		.amdhsa_system_sgpr_workgroup_id_x 1
		.amdhsa_system_sgpr_workgroup_id_y 0
		.amdhsa_system_sgpr_workgroup_id_z 0
		.amdhsa_system_sgpr_workgroup_info 0
		.amdhsa_system_vgpr_workitem_id 0
		.amdhsa_next_free_vgpr 14
		.amdhsa_next_free_sgpr 8
		.amdhsa_reserve_vcc 1
		.amdhsa_reserve_flat_scratch 0
		.amdhsa_float_round_mode_32 0
		.amdhsa_float_round_mode_16_64 0
		.amdhsa_float_denorm_mode_32 3
		.amdhsa_float_denorm_mode_16_64 3
		.amdhsa_dx10_clamp 1
		.amdhsa_ieee_mode 1
		.amdhsa_fp16_overflow 0
		.amdhsa_workgroup_processor_mode 1
		.amdhsa_memory_ordered 1
		.amdhsa_forward_progress 1
		.amdhsa_shared_vgpr_count 0
		.amdhsa_exception_fp_ieee_invalid_op 0
		.amdhsa_exception_fp_denorm_src 0
		.amdhsa_exception_fp_ieee_div_zero 0
		.amdhsa_exception_fp_ieee_overflow 0
		.amdhsa_exception_fp_ieee_underflow 0
		.amdhsa_exception_fp_ieee_inexact 0
		.amdhsa_exception_int_div_zero 0
	.end_amdhsa_kernel
	.section	.text._ZL22dequantize_block_iq1_mI6__halfEvPKvPT_,"axG",@progbits,_ZL22dequantize_block_iq1_mI6__halfEvPKvPT_,comdat
.Lfunc_end14:
	.size	_ZL22dequantize_block_iq1_mI6__halfEvPKvPT_, .Lfunc_end14-_ZL22dequantize_block_iq1_mI6__halfEvPKvPT_
                                        ; -- End function
	.set _ZL22dequantize_block_iq1_mI6__halfEvPKvPT_.num_vgpr, 14
	.set _ZL22dequantize_block_iq1_mI6__halfEvPKvPT_.num_agpr, 0
	.set _ZL22dequantize_block_iq1_mI6__halfEvPKvPT_.numbered_sgpr, 8
	.set _ZL22dequantize_block_iq1_mI6__halfEvPKvPT_.num_named_barrier, 0
	.set _ZL22dequantize_block_iq1_mI6__halfEvPKvPT_.private_seg_size, 0
	.set _ZL22dequantize_block_iq1_mI6__halfEvPKvPT_.uses_vcc, 1
	.set _ZL22dequantize_block_iq1_mI6__halfEvPKvPT_.uses_flat_scratch, 0
	.set _ZL22dequantize_block_iq1_mI6__halfEvPKvPT_.has_dyn_sized_stack, 0
	.set _ZL22dequantize_block_iq1_mI6__halfEvPKvPT_.has_recursion, 0
	.set _ZL22dequantize_block_iq1_mI6__halfEvPKvPT_.has_indirect_call, 0
	.section	.AMDGPU.csdata,"",@progbits
; Kernel info:
; codeLenInByte = 620
; TotalNumSgprs: 10
; NumVgprs: 14
; ScratchSize: 0
; MemoryBound: 0
; FloatMode: 240
; IeeeMode: 1
; LDSByteSize: 0 bytes/workgroup (compile time only)
; SGPRBlocks: 0
; VGPRBlocks: 1
; NumSGPRsForWavesPerEU: 10
; NumVGPRsForWavesPerEU: 14
; Occupancy: 16
; WaveLimiterHint : 0
; COMPUTE_PGM_RSRC2:SCRATCH_EN: 0
; COMPUTE_PGM_RSRC2:USER_SGPR: 6
; COMPUTE_PGM_RSRC2:TRAP_HANDLER: 0
; COMPUTE_PGM_RSRC2:TGID_X_EN: 1
; COMPUTE_PGM_RSRC2:TGID_Y_EN: 0
; COMPUTE_PGM_RSRC2:TGID_Z_EN: 0
; COMPUTE_PGM_RSRC2:TIDIG_COMP_CNT: 0
	.section	.text._ZL23dequantize_block_iq4_nlI6__halfEvPKvPT_,"axG",@progbits,_ZL23dequantize_block_iq4_nlI6__halfEvPKvPT_,comdat
	.globl	_ZL23dequantize_block_iq4_nlI6__halfEvPKvPT_ ; -- Begin function _ZL23dequantize_block_iq4_nlI6__halfEvPKvPT_
	.p2align	8
	.type	_ZL23dequantize_block_iq4_nlI6__halfEvPKvPT_,@function
_ZL23dequantize_block_iq4_nlI6__halfEvPKvPT_: ; @_ZL23dequantize_block_iq4_nlI6__halfEvPKvPT_
; %bb.0:
	s_load_dwordx4 s[0:3], s[4:5], 0x0
	s_mul_i32 s5, s6, 0x90
	v_and_b32_e32 v4, 7, v0
	s_mul_hi_u32 s4, s6, 0x90
	v_lshrrev_b32_e32 v2, 1, v0
	s_mov_b32 s7, 0
	v_and_b32_e32 v5, 0x1fc, v2
	s_waitcnt lgkmcnt(0)
	s_add_u32 s0, s0, s5
	s_addc_u32 s1, s1, s4
	v_mad_u64_u32 v[0:1], null, v4, 18, s[0:1]
	s_lshl_b64 s[0:1], s[6:7], 9
	s_add_u32 s2, s2, s0
	s_addc_u32 s3, s3, s1
	s_getpc_b64 s[0:1]
	s_add_u32 s0, s0, _ZL13kvalues_iq4nl@rel32@lo+4
	s_addc_u32 s1, s1, _ZL13kvalues_iq4nl@rel32@hi+12
	v_add_co_u32 v2, vcc_lo, v0, v5
	v_add_co_ci_u32_e64 v3, null, 0, v1, vcc_lo
	s_clause 0x1
	global_load_ushort v6, v[0:1], off
	global_load_dword v2, v[2:3], off offset:2
	s_waitcnt vmcnt(0)
	v_lshrrev_b16 v0, 4, v2
	v_lshrrev_b32_e32 v1, 8, v2
	v_lshrrev_b32_e32 v3, 24, v2
	v_and_b32_e32 v7, 15, v2
	v_bfe_u32 v8, v2, 8, 4
	v_and_b32_e32 v0, 15, v0
	v_lshrrev_b16 v1, 4, v1
	v_lshrrev_b16 v3, 4, v3
	v_bfe_u32 v9, v2, 16, 4
	v_bfe_u32 v10, v2, 20, 4
	v_and_b32_e32 v0, 0xffff, v0
	v_and_b32_e32 v11, 15, v1
	v_bfe_u32 v12, v2, 24, 4
	v_and_b32_e32 v2, 0xffff, v3
	v_add_co_u32 v0, s4, s0, v0
	v_add_co_ci_u32_e64 v1, null, s1, 0, s4
	v_and_b32_e32 v3, 0xffff, v11
	s_clause 0x2
	global_load_sbyte v7, v7, s[0:1]
	global_load_sbyte v11, v[0:1], off
	global_load_sbyte v8, v8, s[0:1]
	v_add_co_u32 v0, s4, s0, v3
	v_add_co_ci_u32_e64 v1, null, s1, 0, s4
	v_add_co_u32 v2, s4, s0, v2
	v_add_co_ci_u32_e64 v3, null, s1, 0, s4
	s_clause 0x4
	global_load_sbyte v9, v9, s[0:1]
	global_load_sbyte v10, v10, s[0:1]
	global_load_sbyte v1, v[0:1], off
	global_load_sbyte v12, v12, s[0:1]
	global_load_sbyte v3, v[2:3], off
	v_lshlrev_b32_e32 v0, 6, v4
	v_lshlrev_b32_e32 v4, 1, v5
	s_waitcnt vmcnt(7)
	v_cvt_f32_i32_e32 v2, v7
	s_waitcnt vmcnt(6)
	v_cvt_f32_i32_e32 v5, v11
	v_add_co_u32 v7, s0, s2, v0
	v_add_co_ci_u32_e64 v11, null, s3, 0, s0
	v_fma_mixlo_f16 v0, v6, v2, 0 op_sel_hi:[1,0,0]
	v_fma_mixlo_f16 v2, v6, v5, 0 op_sel_hi:[1,0,0]
	s_waitcnt vmcnt(5)
	v_cvt_f32_i32_e32 v8, v8
	s_waitcnt vmcnt(4)
	v_cvt_f32_i32_e32 v5, v9
	;; [unrolled: 2-line block ×6, first 2 shown]
	v_fma_mixlo_f16 v1, v6, v5, 0 op_sel_hi:[1,0,0]
	v_fma_mixlo_f16 v3, v6, v9, 0 op_sel_hi:[1,0,0]
	v_add_co_u32 v4, vcc_lo, v7, v4
	v_add_co_ci_u32_e64 v5, null, 0, v11, vcc_lo
	v_fma_mixhi_f16 v0, v6, v8, 0 op_sel_hi:[1,0,0]
	v_fma_mixhi_f16 v1, v6, v12, 0 op_sel_hi:[1,0,0]
	;; [unrolled: 1-line block ×4, first 2 shown]
	global_store_dwordx2 v[4:5], v[0:1], off
	global_store_dwordx2 v[4:5], v[2:3], off offset:32
	s_endpgm
	.section	.rodata,"a",@progbits
	.p2align	6, 0x0
	.amdhsa_kernel _ZL23dequantize_block_iq4_nlI6__halfEvPKvPT_
		.amdhsa_group_segment_fixed_size 0
		.amdhsa_private_segment_fixed_size 0
		.amdhsa_kernarg_size 16
		.amdhsa_user_sgpr_count 6
		.amdhsa_user_sgpr_private_segment_buffer 1
		.amdhsa_user_sgpr_dispatch_ptr 0
		.amdhsa_user_sgpr_queue_ptr 0
		.amdhsa_user_sgpr_kernarg_segment_ptr 1
		.amdhsa_user_sgpr_dispatch_id 0
		.amdhsa_user_sgpr_flat_scratch_init 0
		.amdhsa_user_sgpr_private_segment_size 0
		.amdhsa_wavefront_size32 1
		.amdhsa_uses_dynamic_stack 0
		.amdhsa_system_sgpr_private_segment_wavefront_offset 0
		.amdhsa_system_sgpr_workgroup_id_x 1
		.amdhsa_system_sgpr_workgroup_id_y 0
		.amdhsa_system_sgpr_workgroup_id_z 0
		.amdhsa_system_sgpr_workgroup_info 0
		.amdhsa_system_vgpr_workitem_id 0
		.amdhsa_next_free_vgpr 14
		.amdhsa_next_free_sgpr 8
		.amdhsa_reserve_vcc 1
		.amdhsa_reserve_flat_scratch 0
		.amdhsa_float_round_mode_32 0
		.amdhsa_float_round_mode_16_64 0
		.amdhsa_float_denorm_mode_32 3
		.amdhsa_float_denorm_mode_16_64 3
		.amdhsa_dx10_clamp 1
		.amdhsa_ieee_mode 1
		.amdhsa_fp16_overflow 0
		.amdhsa_workgroup_processor_mode 1
		.amdhsa_memory_ordered 1
		.amdhsa_forward_progress 1
		.amdhsa_shared_vgpr_count 0
		.amdhsa_exception_fp_ieee_invalid_op 0
		.amdhsa_exception_fp_denorm_src 0
		.amdhsa_exception_fp_ieee_div_zero 0
		.amdhsa_exception_fp_ieee_overflow 0
		.amdhsa_exception_fp_ieee_underflow 0
		.amdhsa_exception_fp_ieee_inexact 0
		.amdhsa_exception_int_div_zero 0
	.end_amdhsa_kernel
	.section	.text._ZL23dequantize_block_iq4_nlI6__halfEvPKvPT_,"axG",@progbits,_ZL23dequantize_block_iq4_nlI6__halfEvPKvPT_,comdat
.Lfunc_end15:
	.size	_ZL23dequantize_block_iq4_nlI6__halfEvPKvPT_, .Lfunc_end15-_ZL23dequantize_block_iq4_nlI6__halfEvPKvPT_
                                        ; -- End function
	.set _ZL23dequantize_block_iq4_nlI6__halfEvPKvPT_.num_vgpr, 14
	.set _ZL23dequantize_block_iq4_nlI6__halfEvPKvPT_.num_agpr, 0
	.set _ZL23dequantize_block_iq4_nlI6__halfEvPKvPT_.numbered_sgpr, 8
	.set _ZL23dequantize_block_iq4_nlI6__halfEvPKvPT_.num_named_barrier, 0
	.set _ZL23dequantize_block_iq4_nlI6__halfEvPKvPT_.private_seg_size, 0
	.set _ZL23dequantize_block_iq4_nlI6__halfEvPKvPT_.uses_vcc, 1
	.set _ZL23dequantize_block_iq4_nlI6__halfEvPKvPT_.uses_flat_scratch, 0
	.set _ZL23dequantize_block_iq4_nlI6__halfEvPKvPT_.has_dyn_sized_stack, 0
	.set _ZL23dequantize_block_iq4_nlI6__halfEvPKvPT_.has_recursion, 0
	.set _ZL23dequantize_block_iq4_nlI6__halfEvPKvPT_.has_indirect_call, 0
	.section	.AMDGPU.csdata,"",@progbits
; Kernel info:
; codeLenInByte = 544
; TotalNumSgprs: 10
; NumVgprs: 14
; ScratchSize: 0
; MemoryBound: 0
; FloatMode: 240
; IeeeMode: 1
; LDSByteSize: 0 bytes/workgroup (compile time only)
; SGPRBlocks: 0
; VGPRBlocks: 1
; NumSGPRsForWavesPerEU: 10
; NumVGPRsForWavesPerEU: 14
; Occupancy: 16
; WaveLimiterHint : 0
; COMPUTE_PGM_RSRC2:SCRATCH_EN: 0
; COMPUTE_PGM_RSRC2:USER_SGPR: 6
; COMPUTE_PGM_RSRC2:TRAP_HANDLER: 0
; COMPUTE_PGM_RSRC2:TGID_X_EN: 1
; COMPUTE_PGM_RSRC2:TGID_Y_EN: 0
; COMPUTE_PGM_RSRC2:TGID_Z_EN: 0
; COMPUTE_PGM_RSRC2:TIDIG_COMP_CNT: 0
	.section	.text._ZL23dequantize_block_iq4_xsI6__halfEvPKvPT_,"axG",@progbits,_ZL23dequantize_block_iq4_xsI6__halfEvPKvPT_,comdat
	.globl	_ZL23dequantize_block_iq4_xsI6__halfEvPKvPT_ ; -- Begin function _ZL23dequantize_block_iq4_xsI6__halfEvPKvPT_
	.p2align	8
	.type	_ZL23dequantize_block_iq4_xsI6__halfEvPKvPT_,@function
_ZL23dequantize_block_iq4_xsI6__halfEvPKvPT_: ; @_ZL23dequantize_block_iq4_xsI6__halfEvPKvPT_
; %bb.0:
	s_load_dwordx4 s[0:3], s[4:5], 0x0
	v_lshrrev_b32_e32 v1, 1, v0
	v_and_b32_e32 v5, 7, v0
	s_mov_b32 s7, 0
	s_lshl_b64 s[4:5], s[6:7], 9
	v_and_b32_e32 v6, 0x1fc, v1
	v_lshlrev_b32_e32 v1, 4, v5
	s_mul_hi_u32 s7, s6, 0x88
	s_mulk_i32 s6, 0x88
	s_waitcnt lgkmcnt(0)
	s_add_u32 s2, s2, s4
	s_addc_u32 s3, s3, s5
	s_add_u32 s0, s0, s6
	s_addc_u32 s1, s1, s7
	v_add_co_u32 v1, s4, s0, v1
	v_add_co_ci_u32_e64 v2, null, s1, 0, s4
	v_add_co_u32 v1, vcc_lo, v1, v6
	v_add_co_ci_u32_e64 v2, null, 0, v2, vcc_lo
	global_load_dword v3, v[1:2], off offset:8
	v_mov_b32_e32 v1, 0
	v_bfe_u32 v2, v0, 1, 2
	v_lshlrev_b32_e32 v0, 2, v0
	s_clause 0x1
	global_load_dword v7, v1, s[0:1]
	global_load_ubyte v8, v2, s[0:1] offset:4
	s_getpc_b64 s[0:1]
	s_add_u32 s0, s0, _ZL13kvalues_iq4nl@rel32@lo+4
	s_addc_u32 s1, s1, _ZL13kvalues_iq4nl@rel32@hi+12
	v_and_b32_e32 v0, 4, v0
	s_waitcnt vmcnt(2)
	v_lshrrev_b16 v1, 4, v3
	v_lshrrev_b32_e32 v2, 8, v3
	v_lshrrev_b32_e32 v4, 24, v3
	v_and_b32_e32 v9, 15, v3
	v_bfe_u32 v10, v3, 8, 4
	v_and_b32_e32 v1, 15, v1
	v_lshrrev_b16 v2, 4, v2
	v_lshrrev_b16 v4, 4, v4
	v_bfe_u32 v11, v3, 16, 4
	v_bfe_u32 v12, v3, 20, 4
	v_and_b32_e32 v1, 0xffff, v1
	v_and_b32_e32 v13, 15, v2
	v_bfe_u32 v14, v3, 24, 4
	v_and_b32_e32 v3, 0xffff, v4
	s_waitcnt vmcnt(0)
	v_bfe_u32 v0, v8, v0, 4
	v_add_co_u32 v1, s4, s0, v1
	v_and_b32_e32 v4, 0xffff, v13
	v_add_co_ci_u32_e64 v2, null, s1, 0, s4
	s_clause 0x2
	global_load_sbyte v9, v9, s[0:1]
	global_load_sbyte v13, v[1:2], off
	global_load_sbyte v10, v10, s[0:1]
	v_add_co_u32 v1, s4, s0, v4
	v_add_co_ci_u32_e64 v2, null, s1, 0, s4
	v_add_co_u32 v3, s4, s0, v3
	v_add_co_ci_u32_e64 v4, null, s1, 0, s4
	s_clause 0x4
	global_load_sbyte v11, v11, s[0:1]
	global_load_sbyte v12, v12, s[0:1]
	global_load_sbyte v1, v[1:2], off
	global_load_sbyte v14, v14, s[0:1]
	global_load_sbyte v3, v[3:4], off
	v_lshlrev_b32_e32 v2, 1, v5
	v_lshlrev_b32_e32 v4, 6, v5
	;; [unrolled: 1-line block ×3, first 2 shown]
	v_lshrrev_b32_sdwa v2, v2, v7 dst_sel:DWORD dst_unused:UNUSED_PAD src0_sel:DWORD src1_sel:WORD_1
	v_add_co_u32 v4, s0, s2, v4
	v_lshlrev_b32_e32 v2, 4, v2
	v_add_co_u32 v4, vcc_lo, v4, v5
	v_and_or_b32 v0, v2, 48, v0
	v_cvt_f32_f16_e32 v2, v7
	v_add_co_ci_u32_e64 v7, null, s3, 0, s0
	v_subrev_nc_u32_e32 v0, 32, v0
	v_add_co_ci_u32_e64 v5, null, 0, v7, vcc_lo
	v_cvt_f32_i32_e32 v0, v0
	v_mul_f32_e32 v6, v2, v0
	s_waitcnt vmcnt(7)
	v_cvt_f32_i32_e32 v0, v9
	s_waitcnt vmcnt(6)
	v_cvt_f32_i32_e32 v2, v13
	;; [unrolled: 2-line block ×3, first 2 shown]
	v_fma_mixlo_f16 v0, v6, v0, 0
	v_fma_mixlo_f16 v2, v6, v2, 0
	s_waitcnt vmcnt(4)
	v_cvt_f32_i32_e32 v9, v11
	s_waitcnt vmcnt(3)
	v_cvt_f32_i32_e32 v10, v12
	;; [unrolled: 2-line block ×5, first 2 shown]
	v_fma_mixlo_f16 v1, v6, v9, 0
	v_fma_mixlo_f16 v3, v6, v10, 0
	v_fma_mixhi_f16 v0, v6, v8, 0
	v_fma_mixhi_f16 v2, v6, v11, 0
	;; [unrolled: 1-line block ×4, first 2 shown]
	global_store_dwordx2 v[4:5], v[0:1], off
	global_store_dwordx2 v[4:5], v[2:3], off offset:32
	s_endpgm
	.section	.rodata,"a",@progbits
	.p2align	6, 0x0
	.amdhsa_kernel _ZL23dequantize_block_iq4_xsI6__halfEvPKvPT_
		.amdhsa_group_segment_fixed_size 0
		.amdhsa_private_segment_fixed_size 0
		.amdhsa_kernarg_size 16
		.amdhsa_user_sgpr_count 6
		.amdhsa_user_sgpr_private_segment_buffer 1
		.amdhsa_user_sgpr_dispatch_ptr 0
		.amdhsa_user_sgpr_queue_ptr 0
		.amdhsa_user_sgpr_kernarg_segment_ptr 1
		.amdhsa_user_sgpr_dispatch_id 0
		.amdhsa_user_sgpr_flat_scratch_init 0
		.amdhsa_user_sgpr_private_segment_size 0
		.amdhsa_wavefront_size32 1
		.amdhsa_uses_dynamic_stack 0
		.amdhsa_system_sgpr_private_segment_wavefront_offset 0
		.amdhsa_system_sgpr_workgroup_id_x 1
		.amdhsa_system_sgpr_workgroup_id_y 0
		.amdhsa_system_sgpr_workgroup_id_z 0
		.amdhsa_system_sgpr_workgroup_info 0
		.amdhsa_system_vgpr_workitem_id 0
		.amdhsa_next_free_vgpr 15
		.amdhsa_next_free_sgpr 8
		.amdhsa_reserve_vcc 1
		.amdhsa_reserve_flat_scratch 0
		.amdhsa_float_round_mode_32 0
		.amdhsa_float_round_mode_16_64 0
		.amdhsa_float_denorm_mode_32 3
		.amdhsa_float_denorm_mode_16_64 3
		.amdhsa_dx10_clamp 1
		.amdhsa_ieee_mode 1
		.amdhsa_fp16_overflow 0
		.amdhsa_workgroup_processor_mode 1
		.amdhsa_memory_ordered 1
		.amdhsa_forward_progress 1
		.amdhsa_shared_vgpr_count 0
		.amdhsa_exception_fp_ieee_invalid_op 0
		.amdhsa_exception_fp_denorm_src 0
		.amdhsa_exception_fp_ieee_div_zero 0
		.amdhsa_exception_fp_ieee_overflow 0
		.amdhsa_exception_fp_ieee_underflow 0
		.amdhsa_exception_fp_ieee_inexact 0
		.amdhsa_exception_int_div_zero 0
	.end_amdhsa_kernel
	.section	.text._ZL23dequantize_block_iq4_xsI6__halfEvPKvPT_,"axG",@progbits,_ZL23dequantize_block_iq4_xsI6__halfEvPKvPT_,comdat
.Lfunc_end16:
	.size	_ZL23dequantize_block_iq4_xsI6__halfEvPKvPT_, .Lfunc_end16-_ZL23dequantize_block_iq4_xsI6__halfEvPKvPT_
                                        ; -- End function
	.set _ZL23dequantize_block_iq4_xsI6__halfEvPKvPT_.num_vgpr, 15
	.set _ZL23dequantize_block_iq4_xsI6__halfEvPKvPT_.num_agpr, 0
	.set _ZL23dequantize_block_iq4_xsI6__halfEvPKvPT_.numbered_sgpr, 8
	.set _ZL23dequantize_block_iq4_xsI6__halfEvPKvPT_.num_named_barrier, 0
	.set _ZL23dequantize_block_iq4_xsI6__halfEvPKvPT_.private_seg_size, 0
	.set _ZL23dequantize_block_iq4_xsI6__halfEvPKvPT_.uses_vcc, 1
	.set _ZL23dequantize_block_iq4_xsI6__halfEvPKvPT_.uses_flat_scratch, 0
	.set _ZL23dequantize_block_iq4_xsI6__halfEvPKvPT_.has_dyn_sized_stack, 0
	.set _ZL23dequantize_block_iq4_xsI6__halfEvPKvPT_.has_recursion, 0
	.set _ZL23dequantize_block_iq4_xsI6__halfEvPKvPT_.has_indirect_call, 0
	.section	.AMDGPU.csdata,"",@progbits
; Kernel info:
; codeLenInByte = 632
; TotalNumSgprs: 10
; NumVgprs: 15
; ScratchSize: 0
; MemoryBound: 0
; FloatMode: 240
; IeeeMode: 1
; LDSByteSize: 0 bytes/workgroup (compile time only)
; SGPRBlocks: 0
; VGPRBlocks: 1
; NumSGPRsForWavesPerEU: 10
; NumVGPRsForWavesPerEU: 15
; Occupancy: 16
; WaveLimiterHint : 0
; COMPUTE_PGM_RSRC2:SCRATCH_EN: 0
; COMPUTE_PGM_RSRC2:USER_SGPR: 6
; COMPUTE_PGM_RSRC2:TRAP_HANDLER: 0
; COMPUTE_PGM_RSRC2:TGID_X_EN: 1
; COMPUTE_PGM_RSRC2:TGID_Y_EN: 0
; COMPUTE_PGM_RSRC2:TGID_Z_EN: 0
; COMPUTE_PGM_RSRC2:TIDIG_COMP_CNT: 0
	.section	.text._ZL22dequantize_block_iq3_sI6__halfEvPKvPT_,"axG",@progbits,_ZL22dequantize_block_iq3_sI6__halfEvPKvPT_,comdat
	.globl	_ZL22dequantize_block_iq3_sI6__halfEvPKvPT_ ; -- Begin function _ZL22dequantize_block_iq3_sI6__halfEvPKvPT_
	.p2align	8
	.type	_ZL22dequantize_block_iq3_sI6__halfEvPKvPT_,@function
_ZL22dequantize_block_iq3_sI6__halfEvPKvPT_: ; @_ZL22dequantize_block_iq3_sI6__halfEvPKvPT_
; %bb.0:
	s_load_dwordx4 s[0:3], s[4:5], 0x0
	s_mov_b32 s7, 0
	v_and_b32_e32 v6, 7, v0
	s_lshl_b64 s[4:5], s[6:7], 9
	s_mul_hi_u32 s7, s6, 0x6e
	s_mulk_i32 s6, 0x6e
	v_lshrrev_b32_e32 v5, 3, v0
	v_lshlrev_b32_e32 v3, 3, v6
	v_bfe_u32 v8, v0, 1, 2
	v_mov_b32_e32 v9, 0
	v_lshlrev_b32_e32 v7, 1, v5
	s_waitcnt lgkmcnt(0)
	s_add_u32 s2, s2, s4
	s_addc_u32 s3, s3, s5
	s_add_u32 s0, s0, s6
	s_addc_u32 s1, s1, s7
	v_add_co_u32 v1, s4, s0, v6
	v_add_co_ci_u32_e64 v2, null, s1, 0, s4
	v_add_co_u32 v3, s4, s0, v3
	v_add_co_ci_u32_e64 v4, null, s1, 0, s4
	v_mad_u64_u32 v[1:2], null, v6, 3, v[1:2]
	v_add_co_u32 v3, vcc_lo, v3, v7
	v_add_co_ci_u32_e64 v4, null, 0, v4, vcc_lo
	v_add_co_u32 v1, vcc_lo, v1, v5
	v_add_co_ci_u32_e64 v2, null, 0, v2, vcc_lo
	s_clause 0x3
	global_load_ushort v3, v[3:4], off offset:2
	global_load_ubyte v4, v8, s[0:1] offset:106
	global_load_sbyte v1, v[1:2], off offset:74
	global_load_ubyte v2, v6, s[0:1] offset:66
	v_mov_b32_e32 v5, 0xffff
	v_sub_nc_u32_e32 v8, 8, v7
	v_sub_nc_u32_e32 v7, 7, v7
	s_waitcnt vmcnt(3)
	v_and_b32_e32 v10, 0xff, v3
	v_and_b32_sdwa v3, v5, v3 dst_sel:DWORD dst_unused:UNUSED_PAD src0_sel:DWORD src1_sel:BYTE_1
	s_waitcnt vmcnt(1)
	v_and_b32_e32 v11, 32, v1
	s_waitcnt vmcnt(0)
	v_lshlrev_b32_e32 v5, v8, v2
	v_lshlrev_b32_e32 v2, v7, v2
	global_load_ushort v7, v9, s[0:1]
	s_getpc_b64 s[0:1]
	s_add_u32 s0, s0, _ZL9iq3s_grid@rel32@lo+4
	s_addc_u32 s1, s1, _ZL9iq3s_grid@rel32@hi+12
	v_and_b32_e32 v8, 1, v1
	v_and_or_b32 v5, 0x100, v5, v10
	v_and_or_b32 v2, 0x100, v2, v3
	v_and_b32_e32 v9, 16, v1
	v_and_b32_e32 v10, 2, v1
	v_cmp_eq_u16_e32 vcc_lo, 0, v8
	v_lshlrev_b32_e32 v3, 2, v5
	v_lshlrev_b32_e32 v2, 2, v2
	;; [unrolled: 1-line block ×3, first 2 shown]
	v_and_b32_e32 v12, 4, v1
	s_clause 0x1
	global_load_dword v3, v3, s[0:1]
	global_load_dword v2, v2, s[0:1]
	v_and_b32_e32 v13, 64, v1
	v_and_b32_e32 v5, 4, v5
	v_and_b32_e32 v14, 8, v1
	v_and_b32_e32 v0, 0x3f8, v0
	v_lshrrev_b32_e32 v4, v5, v4
	v_lshlrev_b32_e32 v5, 6, v6
	v_lshlrev_b32_e32 v0, 1, v0
	v_lshlrev_b32_e32 v4, 1, v4
	v_add_co_u32 v5, s0, s2, v5
	v_add_co_ci_u32_e64 v6, null, s3, 0, s0
	v_and_or_b32 v4, v4, 30, 1
	v_cvt_f32_ubyte0_e32 v4, v4
	s_waitcnt vmcnt(2)
	v_cvt_f32_f16_e32 v7, v7
	v_mul_f32_e32 v4, v7, v4
	s_waitcnt vmcnt(1)
	v_cvt_f32_ubyte0_e32 v7, v3
	s_waitcnt vmcnt(0)
	v_cvt_f32_ubyte0_e32 v15, v2
	v_cvt_f32_ubyte1_e32 v16, v3
	v_cvt_f32_ubyte1_e32 v17, v2
	v_cvt_f32_ubyte2_e32 v18, v3
	v_cvt_f32_ubyte2_e32 v19, v2
	v_cvt_f32_ubyte3_e32 v3, v3
	v_cvt_f32_ubyte3_e32 v2, v2
	v_mul_f32_e32 v7, v4, v7
	v_mul_f32_e32 v15, v4, v15
	;; [unrolled: 1-line block ×8, first 2 shown]
	v_cndmask_b32_e64 v4, -v7, v7, vcc_lo
	v_cmp_eq_u16_e32 vcc_lo, 0, v9
	v_cndmask_b32_e64 v7, -v15, v15, vcc_lo
	v_cmp_eq_u16_e32 vcc_lo, 0, v10
	;; [unrolled: 2-line block ×4, first 2 shown]
	v_cvt_f16_f32_e32 v12, v4
	v_cndmask_b32_e64 v10, -v18, v18, vcc_lo
	v_cmp_eq_u16_e32 vcc_lo, 0, v13
	v_cndmask_b32_e64 v11, -v19, v19, vcc_lo
	v_cmp_eq_u16_e32 vcc_lo, 0, v14
	v_cndmask_b32_e64 v3, -v3, v3, vcc_lo
	v_cmp_gt_i16_e32 vcc_lo, 0, v1
	v_cndmask_b32_e64 v1, v2, -v2, vcc_lo
	v_cvt_f16_f32_e32 v2, v7
	v_cvt_f16_f32_e32 v7, v8
	;; [unrolled: 1-line block ×7, first 2 shown]
	v_add_co_u32 v4, vcc_lo, v5, v0
	v_add_co_ci_u32_e64 v5, null, 0, v6, vcc_lo
	v_pack_b32_f16 v3, v10, v1
	v_pack_b32_f16 v2, v2, v8
	;; [unrolled: 1-line block ×4, first 2 shown]
	global_store_dwordx4 v[4:5], v[0:3], off
	s_endpgm
	.section	.rodata,"a",@progbits
	.p2align	6, 0x0
	.amdhsa_kernel _ZL22dequantize_block_iq3_sI6__halfEvPKvPT_
		.amdhsa_group_segment_fixed_size 0
		.amdhsa_private_segment_fixed_size 0
		.amdhsa_kernarg_size 16
		.amdhsa_user_sgpr_count 6
		.amdhsa_user_sgpr_private_segment_buffer 1
		.amdhsa_user_sgpr_dispatch_ptr 0
		.amdhsa_user_sgpr_queue_ptr 0
		.amdhsa_user_sgpr_kernarg_segment_ptr 1
		.amdhsa_user_sgpr_dispatch_id 0
		.amdhsa_user_sgpr_flat_scratch_init 0
		.amdhsa_user_sgpr_private_segment_size 0
		.amdhsa_wavefront_size32 1
		.amdhsa_uses_dynamic_stack 0
		.amdhsa_system_sgpr_private_segment_wavefront_offset 0
		.amdhsa_system_sgpr_workgroup_id_x 1
		.amdhsa_system_sgpr_workgroup_id_y 0
		.amdhsa_system_sgpr_workgroup_id_z 0
		.amdhsa_system_sgpr_workgroup_info 0
		.amdhsa_system_vgpr_workitem_id 0
		.amdhsa_next_free_vgpr 20
		.amdhsa_next_free_sgpr 8
		.amdhsa_reserve_vcc 1
		.amdhsa_reserve_flat_scratch 0
		.amdhsa_float_round_mode_32 0
		.amdhsa_float_round_mode_16_64 0
		.amdhsa_float_denorm_mode_32 3
		.amdhsa_float_denorm_mode_16_64 3
		.amdhsa_dx10_clamp 1
		.amdhsa_ieee_mode 1
		.amdhsa_fp16_overflow 0
		.amdhsa_workgroup_processor_mode 1
		.amdhsa_memory_ordered 1
		.amdhsa_forward_progress 1
		.amdhsa_shared_vgpr_count 0
		.amdhsa_exception_fp_ieee_invalid_op 0
		.amdhsa_exception_fp_denorm_src 0
		.amdhsa_exception_fp_ieee_div_zero 0
		.amdhsa_exception_fp_ieee_overflow 0
		.amdhsa_exception_fp_ieee_underflow 0
		.amdhsa_exception_fp_ieee_inexact 0
		.amdhsa_exception_int_div_zero 0
	.end_amdhsa_kernel
	.section	.text._ZL22dequantize_block_iq3_sI6__halfEvPKvPT_,"axG",@progbits,_ZL22dequantize_block_iq3_sI6__halfEvPKvPT_,comdat
.Lfunc_end17:
	.size	_ZL22dequantize_block_iq3_sI6__halfEvPKvPT_, .Lfunc_end17-_ZL22dequantize_block_iq3_sI6__halfEvPKvPT_
                                        ; -- End function
	.set _ZL22dequantize_block_iq3_sI6__halfEvPKvPT_.num_vgpr, 20
	.set _ZL22dequantize_block_iq3_sI6__halfEvPKvPT_.num_agpr, 0
	.set _ZL22dequantize_block_iq3_sI6__halfEvPKvPT_.numbered_sgpr, 8
	.set _ZL22dequantize_block_iq3_sI6__halfEvPKvPT_.num_named_barrier, 0
	.set _ZL22dequantize_block_iq3_sI6__halfEvPKvPT_.private_seg_size, 0
	.set _ZL22dequantize_block_iq3_sI6__halfEvPKvPT_.uses_vcc, 1
	.set _ZL22dequantize_block_iq3_sI6__halfEvPKvPT_.uses_flat_scratch, 0
	.set _ZL22dequantize_block_iq3_sI6__halfEvPKvPT_.has_dyn_sized_stack, 0
	.set _ZL22dequantize_block_iq3_sI6__halfEvPKvPT_.has_recursion, 0
	.set _ZL22dequantize_block_iq3_sI6__halfEvPKvPT_.has_indirect_call, 0
	.section	.AMDGPU.csdata,"",@progbits
; Kernel info:
; codeLenInByte = 676
; TotalNumSgprs: 10
; NumVgprs: 20
; ScratchSize: 0
; MemoryBound: 0
; FloatMode: 240
; IeeeMode: 1
; LDSByteSize: 0 bytes/workgroup (compile time only)
; SGPRBlocks: 0
; VGPRBlocks: 2
; NumSGPRsForWavesPerEU: 10
; NumVGPRsForWavesPerEU: 20
; Occupancy: 16
; WaveLimiterHint : 0
; COMPUTE_PGM_RSRC2:SCRATCH_EN: 0
; COMPUTE_PGM_RSRC2:USER_SGPR: 6
; COMPUTE_PGM_RSRC2:TRAP_HANDLER: 0
; COMPUTE_PGM_RSRC2:TGID_X_EN: 1
; COMPUTE_PGM_RSRC2:TGID_Y_EN: 0
; COMPUTE_PGM_RSRC2:TGID_Z_EN: 0
; COMPUTE_PGM_RSRC2:TIDIG_COMP_CNT: 0
	.section	.text._ZL22dequantize_block_mxfp4I6__halfEvPKvPT_,"axG",@progbits,_ZL22dequantize_block_mxfp4I6__halfEvPKvPT_,comdat
	.globl	_ZL22dequantize_block_mxfp4I6__halfEvPKvPT_ ; -- Begin function _ZL22dequantize_block_mxfp4I6__halfEvPKvPT_
	.p2align	8
	.type	_ZL22dequantize_block_mxfp4I6__halfEvPKvPT_,@function
_ZL22dequantize_block_mxfp4I6__halfEvPKvPT_: ; @_ZL22dequantize_block_mxfp4I6__halfEvPKvPT_
; %bb.0:
	s_load_dwordx4 s[0:3], s[4:5], 0x0
	s_mul_i32 s5, s6, 0x88
	v_and_b32_e32 v4, 7, v0
	s_mul_hi_u32 s4, s6, 0x88
	v_lshrrev_b32_e32 v2, 1, v0
	s_mov_b32 s7, 0
	v_and_b32_e32 v5, 0x1fc, v2
	s_waitcnt lgkmcnt(0)
	s_add_u32 s0, s0, s5
	s_addc_u32 s1, s1, s4
	v_mad_u64_u32 v[0:1], null, v4, 17, s[0:1]
	s_lshl_b64 s[0:1], s[6:7], 9
	v_lshlrev_b32_e32 v4, 6, v4
	s_add_u32 s2, s2, s0
	s_addc_u32 s3, s3, s1
	s_getpc_b64 s[0:1]
	s_add_u32 s0, s0, _ZL13kvalues_mxfp4@rel32@lo+4
	s_addc_u32 s1, s1, _ZL13kvalues_mxfp4@rel32@hi+12
	v_add_co_u32 v2, vcc_lo, v0, v5
	v_add_co_ci_u32_e64 v3, null, 0, v1, vcc_lo
	v_lshlrev_b32_e32 v5, 1, v5
	s_clause 0x1
	global_load_ubyte v6, v[0:1], off
	global_load_dword v2, v[2:3], off offset:1
	s_waitcnt vmcnt(1)
	v_cmp_ne_u32_e32 vcc_lo, 0, v6
	s_waitcnt vmcnt(0)
	v_lshrrev_b16 v0, 4, v2
	v_lshrrev_b32_e32 v1, 8, v2
	v_lshrrev_b32_e32 v3, 24, v2
	v_and_b32_e32 v7, 15, v2
	v_bfe_u32 v8, v2, 8, 4
	v_and_b32_e32 v0, 15, v0
	v_lshrrev_b16 v1, 4, v1
	v_lshrrev_b16 v3, 4, v3
	v_bfe_u32 v9, v2, 16, 4
	v_bfe_u32 v11, v2, 20, 4
	v_and_b32_e32 v0, 0xffff, v0
	v_and_b32_e32 v10, 15, v1
	v_bfe_u32 v12, v2, 24, 4
	v_and_b32_e32 v3, 0xffff, v3
	global_load_sbyte v7, v7, s[0:1]
	v_add_co_u32 v0, s4, s0, v0
	v_add_co_ci_u32_e64 v1, null, s1, 0, s4
	v_and_b32_e32 v2, 0xffff, v10
	s_clause 0x1
	global_load_sbyte v10, v[0:1], off
	global_load_sbyte v8, v8, s[0:1]
	v_add_co_u32 v0, s4, s0, v2
	v_add_co_ci_u32_e64 v1, null, s1, 0, s4
	v_add_co_u32 v2, s4, s0, v3
	v_add_co_ci_u32_e64 v3, null, s1, 0, s4
	s_clause 0x4
	global_load_sbyte v1, v[0:1], off
	global_load_sbyte v9, v9, s[0:1]
	global_load_sbyte v11, v11, s[0:1]
	;; [unrolled: 1-line block ×3, first 2 shown]
	global_load_sbyte v2, v[2:3], off
	v_lshlrev_b32_e32 v0, 23, v6
	s_mov_b32 s0, 0.5
	v_add_co_u32 v4, s1, s2, v4
	v_cndmask_b32_e32 v3, 0x400000, v0, vcc_lo
	v_add_co_u32 v4, vcc_lo, v4, v5
	s_waitcnt vmcnt(7)
	v_cvt_f32_i32_e32 v0, v7
	v_mul_f32_e32 v0, v3, v0
	s_waitcnt vmcnt(6)
	v_cvt_f32_i32_e32 v6, v10
	s_waitcnt vmcnt(5)
	v_cvt_f32_i32_e32 v7, v8
	v_add_co_ci_u32_e64 v8, null, s3, 0, s1
	v_fma_mixlo_f16 v0, v0, s0, 0
	v_mul_f32_e32 v6, v3, v6
	v_mul_f32_e32 v7, v3, v7
	s_waitcnt vmcnt(4)
	v_cvt_f32_i32_e32 v1, v1
	s_waitcnt vmcnt(3)
	v_cvt_f32_i32_e32 v9, v9
	s_waitcnt vmcnt(2)
	v_cvt_f32_i32_e32 v10, v11
	s_waitcnt vmcnt(1)
	v_cvt_f32_i32_e32 v11, v12
	s_waitcnt vmcnt(0)
	v_cvt_f32_i32_e32 v12, v2
	v_fma_mixlo_f16 v2, v6, s0, 0
	v_mul_f32_e32 v6, v3, v9
	v_mul_f32_e32 v9, v3, v10
	;; [unrolled: 1-line block ×5, first 2 shown]
	v_fma_mixlo_f16 v1, v6, s0, 0
	v_fma_mixlo_f16 v3, v9, s0, 0
	v_add_co_ci_u32_e64 v5, null, 0, v8, vcc_lo
	v_fma_mixhi_f16 v0, v7, s0, 0
	v_fma_mixhi_f16 v1, v11, s0, 0
	;; [unrolled: 1-line block ×4, first 2 shown]
	global_store_dwordx2 v[4:5], v[0:1], off
	global_store_dwordx2 v[4:5], v[2:3], off offset:32
	s_endpgm
	.section	.rodata,"a",@progbits
	.p2align	6, 0x0
	.amdhsa_kernel _ZL22dequantize_block_mxfp4I6__halfEvPKvPT_
		.amdhsa_group_segment_fixed_size 0
		.amdhsa_private_segment_fixed_size 0
		.amdhsa_kernarg_size 16
		.amdhsa_user_sgpr_count 6
		.amdhsa_user_sgpr_private_segment_buffer 1
		.amdhsa_user_sgpr_dispatch_ptr 0
		.amdhsa_user_sgpr_queue_ptr 0
		.amdhsa_user_sgpr_kernarg_segment_ptr 1
		.amdhsa_user_sgpr_dispatch_id 0
		.amdhsa_user_sgpr_flat_scratch_init 0
		.amdhsa_user_sgpr_private_segment_size 0
		.amdhsa_wavefront_size32 1
		.amdhsa_uses_dynamic_stack 0
		.amdhsa_system_sgpr_private_segment_wavefront_offset 0
		.amdhsa_system_sgpr_workgroup_id_x 1
		.amdhsa_system_sgpr_workgroup_id_y 0
		.amdhsa_system_sgpr_workgroup_id_z 0
		.amdhsa_system_sgpr_workgroup_info 0
		.amdhsa_system_vgpr_workitem_id 0
		.amdhsa_next_free_vgpr 13
		.amdhsa_next_free_sgpr 8
		.amdhsa_reserve_vcc 1
		.amdhsa_reserve_flat_scratch 0
		.amdhsa_float_round_mode_32 0
		.amdhsa_float_round_mode_16_64 0
		.amdhsa_float_denorm_mode_32 3
		.amdhsa_float_denorm_mode_16_64 3
		.amdhsa_dx10_clamp 1
		.amdhsa_ieee_mode 1
		.amdhsa_fp16_overflow 0
		.amdhsa_workgroup_processor_mode 1
		.amdhsa_memory_ordered 1
		.amdhsa_forward_progress 1
		.amdhsa_shared_vgpr_count 0
		.amdhsa_exception_fp_ieee_invalid_op 0
		.amdhsa_exception_fp_denorm_src 0
		.amdhsa_exception_fp_ieee_div_zero 0
		.amdhsa_exception_fp_ieee_overflow 0
		.amdhsa_exception_fp_ieee_underflow 0
		.amdhsa_exception_fp_ieee_inexact 0
		.amdhsa_exception_int_div_zero 0
	.end_amdhsa_kernel
	.section	.text._ZL22dequantize_block_mxfp4I6__halfEvPKvPT_,"axG",@progbits,_ZL22dequantize_block_mxfp4I6__halfEvPKvPT_,comdat
.Lfunc_end18:
	.size	_ZL22dequantize_block_mxfp4I6__halfEvPKvPT_, .Lfunc_end18-_ZL22dequantize_block_mxfp4I6__halfEvPKvPT_
                                        ; -- End function
	.set _ZL22dequantize_block_mxfp4I6__halfEvPKvPT_.num_vgpr, 13
	.set _ZL22dequantize_block_mxfp4I6__halfEvPKvPT_.num_agpr, 0
	.set _ZL22dequantize_block_mxfp4I6__halfEvPKvPT_.numbered_sgpr, 8
	.set _ZL22dequantize_block_mxfp4I6__halfEvPKvPT_.num_named_barrier, 0
	.set _ZL22dequantize_block_mxfp4I6__halfEvPKvPT_.private_seg_size, 0
	.set _ZL22dequantize_block_mxfp4I6__halfEvPKvPT_.uses_vcc, 1
	.set _ZL22dequantize_block_mxfp4I6__halfEvPKvPT_.uses_flat_scratch, 0
	.set _ZL22dequantize_block_mxfp4I6__halfEvPKvPT_.has_dyn_sized_stack, 0
	.set _ZL22dequantize_block_mxfp4I6__halfEvPKvPT_.has_recursion, 0
	.set _ZL22dequantize_block_mxfp4I6__halfEvPKvPT_.has_indirect_call, 0
	.section	.AMDGPU.csdata,"",@progbits
; Kernel info:
; codeLenInByte = 600
; TotalNumSgprs: 10
; NumVgprs: 13
; ScratchSize: 0
; MemoryBound: 0
; FloatMode: 240
; IeeeMode: 1
; LDSByteSize: 0 bytes/workgroup (compile time only)
; SGPRBlocks: 0
; VGPRBlocks: 1
; NumSGPRsForWavesPerEU: 10
; NumVGPRsForWavesPerEU: 13
; Occupancy: 16
; WaveLimiterHint : 0
; COMPUTE_PGM_RSRC2:SCRATCH_EN: 0
; COMPUTE_PGM_RSRC2:USER_SGPR: 6
; COMPUTE_PGM_RSRC2:TRAP_HANDLER: 0
; COMPUTE_PGM_RSRC2:TGID_X_EN: 1
; COMPUTE_PGM_RSRC2:TGID_Y_EN: 0
; COMPUTE_PGM_RSRC2:TGID_Z_EN: 0
; COMPUTE_PGM_RSRC2:TIDIG_COMP_CNT: 0
	.section	.text._ZL22dequantize_block_nvfp4I6__halfEvPKvPT_l,"axG",@progbits,_ZL22dequantize_block_nvfp4I6__halfEvPKvPT_l,comdat
	.globl	_ZL22dequantize_block_nvfp4I6__halfEvPKvPT_l ; -- Begin function _ZL22dequantize_block_nvfp4I6__halfEvPKvPT_l
	.p2align	8
	.type	_ZL22dequantize_block_nvfp4I6__halfEvPKvPT_l,@function
_ZL22dequantize_block_nvfp4I6__halfEvPKvPT_l: ; @_ZL22dequantize_block_nvfp4I6__halfEvPKvPT_l
; %bb.0:
	s_load_dwordx2 s[2:3], s[4:5], 0x10
	s_mov_b32 s7, 0
	s_lshl_b64 s[0:1], s[6:7], 6
	s_waitcnt lgkmcnt(0)
	v_cmp_ge_i64_e64 s2, s[0:1], s[2:3]
	s_and_b32 vcc_lo, exec_lo, s2
	s_cbranch_vccnz .LBB19_6
; %bb.1:
	s_load_dwordx2 s[2:3], s[4:5], 0x0
	s_mul_i32 s8, s6, 36
	v_lshrrev_b32_e32 v1, 3, v0
	s_mul_hi_u32 s6, s6, 36
	s_waitcnt lgkmcnt(0)
	s_add_u32 s8, s2, s8
	s_addc_u32 s9, s3, s6
	s_mov_b32 s2, exec_lo
	global_load_ubyte v3, v1, s[8:9]
	s_waitcnt vmcnt(0)
	v_cmpx_lt_i16_e32 0x7e, v3
	s_xor_b32 s2, exec_lo, s2
	s_cbranch_execnz .LBB19_7
; %bb.2:
	s_or_saveexec_b32 s6, s2
	s_load_dwordx2 s[2:3], s[4:5], 0x8
	s_xor_b32 exec_lo, exec_lo, s6
	s_cbranch_execnz .LBB19_8
.LBB19_3:
	s_or_b32 exec_lo, exec_lo, s6
	v_mov_b32_e32 v2, 0
	s_and_saveexec_b32 s4, s7
	s_cbranch_execz .LBB19_5
.LBB19_4:
	v_and_b32_e32 v2, 0xffff, v3
	v_mov_b32_e32 v4, 1.0
	v_and_b32_e32 v3, 7, v2
	v_bfe_u32 v2, v2, 3, 4
	v_cvt_f32_ubyte0_e32 v3, v3
	v_add_nc_u32_e32 v5, -7, v2
	v_cmp_eq_u32_e32 vcc_lo, 0, v2
	v_fmamk_f32 v4, v3, 0x3e000000, v4
	v_cndmask_b32_e32 v2, v4, v3, vcc_lo
	v_cndmask_b32_e64 v3, v5, -9, vcc_lo
	v_ldexp_f32 v2, v2, v3
	v_mul_f32_e32 v2, 0.5, v2
.LBB19_5:
	s_or_b32 exec_lo, exec_lo, s4
	global_load_ubyte v3, v0, s[8:9] offset:4
	s_getpc_b64 s[4:5]
	s_add_u32 s4, s4, _ZL13kvalues_mxfp4@rel32@lo+4
	s_addc_u32 s5, s5, _ZL13kvalues_mxfp4@rel32@hi+12
	v_and_b32_e32 v0, 7, v0
	v_lshlrev_b32_e32 v1, 5, v1
	s_lshl_b64 s[0:1], s[0:1], 1
	s_waitcnt lgkmcnt(0)
	s_add_u32 s0, s2, s0
	s_addc_u32 s1, s3, s1
	v_lshlrev_b32_e32 v0, 1, v0
	v_add_co_u32 v1, s0, s0, v1
	v_add_co_ci_u32_e64 v5, null, s1, 0, s0
	v_add_co_u32 v0, vcc_lo, v1, v0
	v_add_co_ci_u32_e64 v1, null, 0, v5, vcc_lo
	s_waitcnt vmcnt(0)
	v_and_b32_e32 v4, 15, v3
	v_lshrrev_b32_e32 v3, 4, v3
	s_clause 0x1
	global_load_sbyte v4, v4, s[4:5]
	global_load_sbyte v3, v3, s[4:5]
	s_waitcnt vmcnt(1)
	v_cvt_f32_i32_e32 v4, v4
	s_waitcnt vmcnt(0)
	v_cvt_f32_i32_e32 v3, v3
	v_fma_mixlo_f16 v4, v2, v4, 0
	v_fma_mixlo_f16 v2, v2, v3, 0
	global_store_short v[0:1], v4, off
	global_store_short v[0:1], v2, off offset:16
.LBB19_6:
	s_endpgm
.LBB19_7:
	v_cmp_ne_u16_e32 vcc_lo, 0x7f, v3
	s_and_b32 s7, vcc_lo, exec_lo
	s_or_saveexec_b32 s6, s2
	s_load_dwordx2 s[2:3], s[4:5], 0x8
	s_xor_b32 exec_lo, exec_lo, s6
	s_cbranch_execz .LBB19_3
.LBB19_8:
	v_cmp_ne_u16_e32 vcc_lo, 0, v3
	s_andn2_b32 s4, s7, exec_lo
	s_and_b32 s5, vcc_lo, exec_lo
	s_or_b32 s7, s4, s5
	s_or_b32 exec_lo, exec_lo, s6
	v_mov_b32_e32 v2, 0
	s_and_saveexec_b32 s4, s7
	s_cbranch_execnz .LBB19_4
	s_branch .LBB19_5
	.section	.rodata,"a",@progbits
	.p2align	6, 0x0
	.amdhsa_kernel _ZL22dequantize_block_nvfp4I6__halfEvPKvPT_l
		.amdhsa_group_segment_fixed_size 0
		.amdhsa_private_segment_fixed_size 0
		.amdhsa_kernarg_size 24
		.amdhsa_user_sgpr_count 6
		.amdhsa_user_sgpr_private_segment_buffer 1
		.amdhsa_user_sgpr_dispatch_ptr 0
		.amdhsa_user_sgpr_queue_ptr 0
		.amdhsa_user_sgpr_kernarg_segment_ptr 1
		.amdhsa_user_sgpr_dispatch_id 0
		.amdhsa_user_sgpr_flat_scratch_init 0
		.amdhsa_user_sgpr_private_segment_size 0
		.amdhsa_wavefront_size32 1
		.amdhsa_uses_dynamic_stack 0
		.amdhsa_system_sgpr_private_segment_wavefront_offset 0
		.amdhsa_system_sgpr_workgroup_id_x 1
		.amdhsa_system_sgpr_workgroup_id_y 0
		.amdhsa_system_sgpr_workgroup_id_z 0
		.amdhsa_system_sgpr_workgroup_info 0
		.amdhsa_system_vgpr_workitem_id 0
		.amdhsa_next_free_vgpr 6
		.amdhsa_next_free_sgpr 10
		.amdhsa_reserve_vcc 1
		.amdhsa_reserve_flat_scratch 0
		.amdhsa_float_round_mode_32 0
		.amdhsa_float_round_mode_16_64 0
		.amdhsa_float_denorm_mode_32 3
		.amdhsa_float_denorm_mode_16_64 3
		.amdhsa_dx10_clamp 1
		.amdhsa_ieee_mode 1
		.amdhsa_fp16_overflow 0
		.amdhsa_workgroup_processor_mode 1
		.amdhsa_memory_ordered 1
		.amdhsa_forward_progress 1
		.amdhsa_shared_vgpr_count 0
		.amdhsa_exception_fp_ieee_invalid_op 0
		.amdhsa_exception_fp_denorm_src 0
		.amdhsa_exception_fp_ieee_div_zero 0
		.amdhsa_exception_fp_ieee_overflow 0
		.amdhsa_exception_fp_ieee_underflow 0
		.amdhsa_exception_fp_ieee_inexact 0
		.amdhsa_exception_int_div_zero 0
	.end_amdhsa_kernel
	.section	.text._ZL22dequantize_block_nvfp4I6__halfEvPKvPT_l,"axG",@progbits,_ZL22dequantize_block_nvfp4I6__halfEvPKvPT_l,comdat
.Lfunc_end19:
	.size	_ZL22dequantize_block_nvfp4I6__halfEvPKvPT_l, .Lfunc_end19-_ZL22dequantize_block_nvfp4I6__halfEvPKvPT_l
                                        ; -- End function
	.set _ZL22dequantize_block_nvfp4I6__halfEvPKvPT_l.num_vgpr, 6
	.set _ZL22dequantize_block_nvfp4I6__halfEvPKvPT_l.num_agpr, 0
	.set _ZL22dequantize_block_nvfp4I6__halfEvPKvPT_l.numbered_sgpr, 10
	.set _ZL22dequantize_block_nvfp4I6__halfEvPKvPT_l.num_named_barrier, 0
	.set _ZL22dequantize_block_nvfp4I6__halfEvPKvPT_l.private_seg_size, 0
	.set _ZL22dequantize_block_nvfp4I6__halfEvPKvPT_l.uses_vcc, 1
	.set _ZL22dequantize_block_nvfp4I6__halfEvPKvPT_l.uses_flat_scratch, 0
	.set _ZL22dequantize_block_nvfp4I6__halfEvPKvPT_l.has_dyn_sized_stack, 0
	.set _ZL22dequantize_block_nvfp4I6__halfEvPKvPT_l.has_recursion, 0
	.set _ZL22dequantize_block_nvfp4I6__halfEvPKvPT_l.has_indirect_call, 0
	.section	.AMDGPU.csdata,"",@progbits
; Kernel info:
; codeLenInByte = 448
; TotalNumSgprs: 12
; NumVgprs: 6
; ScratchSize: 0
; MemoryBound: 0
; FloatMode: 240
; IeeeMode: 1
; LDSByteSize: 0 bytes/workgroup (compile time only)
; SGPRBlocks: 0
; VGPRBlocks: 0
; NumSGPRsForWavesPerEU: 12
; NumVGPRsForWavesPerEU: 6
; Occupancy: 16
; WaveLimiterHint : 0
; COMPUTE_PGM_RSRC2:SCRATCH_EN: 0
; COMPUTE_PGM_RSRC2:USER_SGPR: 6
; COMPUTE_PGM_RSRC2:TRAP_HANDLER: 0
; COMPUTE_PGM_RSRC2:TGID_X_EN: 1
; COMPUTE_PGM_RSRC2:TGID_Y_EN: 0
; COMPUTE_PGM_RSRC2:TGID_Z_EN: 0
; COMPUTE_PGM_RSRC2:TIDIG_COMP_CNT: 0
	.section	.text._ZL21dequantize_block_q4_0IfEvPKvPT_i,"axG",@progbits,_ZL21dequantize_block_q4_0IfEvPKvPT_i,comdat
	.globl	_ZL21dequantize_block_q4_0IfEvPKvPT_i ; -- Begin function _ZL21dequantize_block_q4_0IfEvPKvPT_i
	.p2align	8
	.type	_ZL21dequantize_block_q4_0IfEvPKvPT_i,@function
_ZL21dequantize_block_q4_0IfEvPKvPT_i:  ; @_ZL21dequantize_block_q4_0IfEvPKvPT_i
; %bb.0:
	s_load_dword s0, s[4:5], 0x10
	v_and_b32_e32 v3, 7, v0
	s_mov_b32 s7, 0
	s_lshl_b64 s[2:3], s[6:7], 3
	v_mov_b32_e32 v2, s3
	v_or_b32_e32 v1, s2, v3
	s_waitcnt lgkmcnt(0)
	s_ashr_i32 s1, s0, 31
	v_cmp_gt_i64_e32 vcc_lo, s[0:1], v[1:2]
	s_and_saveexec_b32 s0, vcc_lo
	s_cbranch_execz .LBB20_2
; %bb.1:
	s_load_dwordx4 s[0:3], s[4:5], 0x0
	v_lshrrev_b32_e32 v0, 1, v0
	s_waitcnt lgkmcnt(0)
	v_mad_u64_u32 v[4:5], null, v1, 18, s[0:1]
	s_lshl_b64 s[0:1], s[6:7], 10
	s_add_u32 s0, s2, s0
	s_addc_u32 s1, s3, s1
	v_mad_u32_u24 v5, v2, 18, v5
	v_and_b32_e32 v2, 0x1fc, v0
	global_load_ushort v7, v[4:5], off
	v_add_co_u32 v0, vcc_lo, v4, v2
	v_add_co_ci_u32_e64 v1, null, 0, v5, vcc_lo
	v_lshlrev_b32_e32 v2, 2, v2
	global_load_dword v0, v[0:1], off offset:2
	v_lshlrev_b32_e32 v1, 7, v3
	v_add_co_u32 v1, s0, s0, v1
	v_add_co_ci_u32_e64 v3, null, s1, 0, s0
	v_add_co_u32 v8, vcc_lo, v1, v2
	v_add_co_ci_u32_e64 v9, null, 0, v3, vcc_lo
	s_waitcnt vmcnt(1)
	v_cvt_f32_f16_e32 v4, v7
	v_mul_f32_e32 v10, 0xc1000000, v4
	s_waitcnt vmcnt(0)
	v_lshrrev_b32_e32 v1, 8, v0
	v_lshrrev_b32_e32 v2, 24, v0
	v_lshrrev_b16 v4, 4, v0
	v_bfe_u32 v5, v0, 8, 4
	v_and_b32_e32 v3, 15, v0
	v_lshrrev_b16 v1, 4, v1
	v_bfe_u32 v6, v0, 16, 4
	v_bfe_u32 v11, v0, 20, 4
	;; [unrolled: 1-line block ×3, first 2 shown]
	v_and_b32_e32 v4, 15, v4
	v_cvt_f32_ubyte0_e32 v5, v5
	v_lshrrev_b16 v13, 4, v2
	v_and_b32_e32 v14, 15, v1
	v_cvt_f32_ubyte0_e32 v3, v3
	v_cvt_f32_ubyte0_e32 v6, v6
	;; [unrolled: 1-line block ×5, first 2 shown]
	v_fma_mix_f32 v1, v7, v5, v10 op_sel_hi:[1,0,0]
	v_cvt_f32_ubyte0_e32 v5, v14
	v_cvt_f32_ubyte0_e32 v13, v13
	v_fma_mix_f32 v0, v7, v3, v10 op_sel_hi:[1,0,0]
	v_fma_mix_f32 v2, v7, v6, v10 op_sel_hi:[1,0,0]
	;; [unrolled: 1-line block ×7, first 2 shown]
	global_store_dwordx4 v[8:9], v[0:3], off
	global_store_dwordx4 v[8:9], v[4:7], off offset:64
.LBB20_2:
	s_endpgm
	.section	.rodata,"a",@progbits
	.p2align	6, 0x0
	.amdhsa_kernel _ZL21dequantize_block_q4_0IfEvPKvPT_i
		.amdhsa_group_segment_fixed_size 0
		.amdhsa_private_segment_fixed_size 0
		.amdhsa_kernarg_size 20
		.amdhsa_user_sgpr_count 6
		.amdhsa_user_sgpr_private_segment_buffer 1
		.amdhsa_user_sgpr_dispatch_ptr 0
		.amdhsa_user_sgpr_queue_ptr 0
		.amdhsa_user_sgpr_kernarg_segment_ptr 1
		.amdhsa_user_sgpr_dispatch_id 0
		.amdhsa_user_sgpr_flat_scratch_init 0
		.amdhsa_user_sgpr_private_segment_size 0
		.amdhsa_wavefront_size32 1
		.amdhsa_uses_dynamic_stack 0
		.amdhsa_system_sgpr_private_segment_wavefront_offset 0
		.amdhsa_system_sgpr_workgroup_id_x 1
		.amdhsa_system_sgpr_workgroup_id_y 0
		.amdhsa_system_sgpr_workgroup_id_z 0
		.amdhsa_system_sgpr_workgroup_info 0
		.amdhsa_system_vgpr_workitem_id 0
		.amdhsa_next_free_vgpr 15
		.amdhsa_next_free_sgpr 8
		.amdhsa_reserve_vcc 1
		.amdhsa_reserve_flat_scratch 0
		.amdhsa_float_round_mode_32 0
		.amdhsa_float_round_mode_16_64 0
		.amdhsa_float_denorm_mode_32 3
		.amdhsa_float_denorm_mode_16_64 3
		.amdhsa_dx10_clamp 1
		.amdhsa_ieee_mode 1
		.amdhsa_fp16_overflow 0
		.amdhsa_workgroup_processor_mode 1
		.amdhsa_memory_ordered 1
		.amdhsa_forward_progress 1
		.amdhsa_shared_vgpr_count 0
		.amdhsa_exception_fp_ieee_invalid_op 0
		.amdhsa_exception_fp_denorm_src 0
		.amdhsa_exception_fp_ieee_div_zero 0
		.amdhsa_exception_fp_ieee_overflow 0
		.amdhsa_exception_fp_ieee_underflow 0
		.amdhsa_exception_fp_ieee_inexact 0
		.amdhsa_exception_int_div_zero 0
	.end_amdhsa_kernel
	.section	.text._ZL21dequantize_block_q4_0IfEvPKvPT_i,"axG",@progbits,_ZL21dequantize_block_q4_0IfEvPKvPT_i,comdat
.Lfunc_end20:
	.size	_ZL21dequantize_block_q4_0IfEvPKvPT_i, .Lfunc_end20-_ZL21dequantize_block_q4_0IfEvPKvPT_i
                                        ; -- End function
	.set _ZL21dequantize_block_q4_0IfEvPKvPT_i.num_vgpr, 15
	.set _ZL21dequantize_block_q4_0IfEvPKvPT_i.num_agpr, 0
	.set _ZL21dequantize_block_q4_0IfEvPKvPT_i.numbered_sgpr, 8
	.set _ZL21dequantize_block_q4_0IfEvPKvPT_i.num_named_barrier, 0
	.set _ZL21dequantize_block_q4_0IfEvPKvPT_i.private_seg_size, 0
	.set _ZL21dequantize_block_q4_0IfEvPKvPT_i.uses_vcc, 1
	.set _ZL21dequantize_block_q4_0IfEvPKvPT_i.uses_flat_scratch, 0
	.set _ZL21dequantize_block_q4_0IfEvPKvPT_i.has_dyn_sized_stack, 0
	.set _ZL21dequantize_block_q4_0IfEvPKvPT_i.has_recursion, 0
	.set _ZL21dequantize_block_q4_0IfEvPKvPT_i.has_indirect_call, 0
	.section	.AMDGPU.csdata,"",@progbits
; Kernel info:
; codeLenInByte = 384
; TotalNumSgprs: 10
; NumVgprs: 15
; ScratchSize: 0
; MemoryBound: 0
; FloatMode: 240
; IeeeMode: 1
; LDSByteSize: 0 bytes/workgroup (compile time only)
; SGPRBlocks: 0
; VGPRBlocks: 1
; NumSGPRsForWavesPerEU: 10
; NumVGPRsForWavesPerEU: 15
; Occupancy: 16
; WaveLimiterHint : 0
; COMPUTE_PGM_RSRC2:SCRATCH_EN: 0
; COMPUTE_PGM_RSRC2:USER_SGPR: 6
; COMPUTE_PGM_RSRC2:TRAP_HANDLER: 0
; COMPUTE_PGM_RSRC2:TGID_X_EN: 1
; COMPUTE_PGM_RSRC2:TGID_Y_EN: 0
; COMPUTE_PGM_RSRC2:TGID_Z_EN: 0
; COMPUTE_PGM_RSRC2:TIDIG_COMP_CNT: 0
	.section	.text._ZL21dequantize_block_q4_1IfEvPKvPT_i,"axG",@progbits,_ZL21dequantize_block_q4_1IfEvPKvPT_i,comdat
	.globl	_ZL21dequantize_block_q4_1IfEvPKvPT_i ; -- Begin function _ZL21dequantize_block_q4_1IfEvPKvPT_i
	.p2align	8
	.type	_ZL21dequantize_block_q4_1IfEvPKvPT_i,@function
_ZL21dequantize_block_q4_1IfEvPKvPT_i:  ; @_ZL21dequantize_block_q4_1IfEvPKvPT_i
; %bb.0:
	s_load_dword s0, s[4:5], 0x10
	v_and_b32_e32 v3, 7, v0
	s_mov_b32 s7, 0
	s_lshl_b64 s[2:3], s[6:7], 3
	v_mov_b32_e32 v2, s3
	v_or_b32_e32 v1, s2, v3
	s_waitcnt lgkmcnt(0)
	s_ashr_i32 s1, s0, 31
	v_cmp_gt_i64_e32 vcc_lo, s[0:1], v[1:2]
	s_and_saveexec_b32 s0, vcc_lo
	s_cbranch_execz .LBB21_2
; %bb.1:
	s_load_dwordx4 s[0:3], s[4:5], 0x0
	v_lshrrev_b32_e32 v0, 1, v0
	v_and_b32_e32 v6, 0x1fc, v0
	s_waitcnt lgkmcnt(0)
	v_mad_u64_u32 v[4:5], null, v1, 20, s[0:1]
	s_lshl_b64 s[0:1], s[6:7], 10
	s_add_u32 s0, s2, s0
	s_addc_u32 s1, s3, s1
	v_mad_u32_u24 v5, v2, 20, v5
	v_add_co_u32 v0, vcc_lo, v4, v6
	v_lshlrev_b32_e32 v2, 2, v6
	v_add_co_ci_u32_e64 v1, null, 0, v5, vcc_lo
	s_clause 0x1
	global_load_dword v0, v[0:1], off offset:4
	global_load_dword v7, v[4:5], off
	v_lshlrev_b32_e32 v1, 7, v3
	v_add_co_u32 v1, s0, s0, v1
	v_add_co_ci_u32_e64 v3, null, s1, 0, s0
	v_add_co_u32 v8, vcc_lo, v1, v2
	v_add_co_ci_u32_e64 v9, null, 0, v3, vcc_lo
	s_waitcnt vmcnt(1)
	v_lshrrev_b32_e32 v1, 8, v0
	v_lshrrev_b32_e32 v2, 24, v0
	v_lshrrev_b16 v4, 4, v0
	v_bfe_u32 v5, v0, 8, 4
	v_and_b32_e32 v3, 15, v0
	v_lshrrev_b16 v1, 4, v1
	v_bfe_u32 v6, v0, 16, 4
	v_bfe_u32 v10, v0, 20, 4
	;; [unrolled: 1-line block ×3, first 2 shown]
	v_and_b32_e32 v4, 15, v4
	v_cvt_f32_ubyte0_e32 v5, v5
	v_lshrrev_b16 v12, 4, v2
	v_and_b32_e32 v13, 15, v1
	v_cvt_f32_ubyte0_e32 v3, v3
	v_cvt_f32_ubyte0_e32 v6, v6
	;; [unrolled: 1-line block ×5, first 2 shown]
	s_waitcnt vmcnt(0)
	v_fma_mix_f32 v1, v7, v5, v7 op_sel:[0,0,1] op_sel_hi:[1,0,1]
	v_cvt_f32_ubyte0_e32 v5, v13
	v_cvt_f32_ubyte0_e32 v12, v12
	v_fma_mix_f32 v0, v7, v3, v7 op_sel:[0,0,1] op_sel_hi:[1,0,1]
	v_fma_mix_f32 v2, v7, v6, v7 op_sel:[0,0,1] op_sel_hi:[1,0,1]
	;; [unrolled: 1-line block ×7, first 2 shown]
	global_store_dwordx4 v[8:9], v[0:3], off
	global_store_dwordx4 v[8:9], v[4:7], off offset:64
.LBB21_2:
	s_endpgm
	.section	.rodata,"a",@progbits
	.p2align	6, 0x0
	.amdhsa_kernel _ZL21dequantize_block_q4_1IfEvPKvPT_i
		.amdhsa_group_segment_fixed_size 0
		.amdhsa_private_segment_fixed_size 0
		.amdhsa_kernarg_size 20
		.amdhsa_user_sgpr_count 6
		.amdhsa_user_sgpr_private_segment_buffer 1
		.amdhsa_user_sgpr_dispatch_ptr 0
		.amdhsa_user_sgpr_queue_ptr 0
		.amdhsa_user_sgpr_kernarg_segment_ptr 1
		.amdhsa_user_sgpr_dispatch_id 0
		.amdhsa_user_sgpr_flat_scratch_init 0
		.amdhsa_user_sgpr_private_segment_size 0
		.amdhsa_wavefront_size32 1
		.amdhsa_uses_dynamic_stack 0
		.amdhsa_system_sgpr_private_segment_wavefront_offset 0
		.amdhsa_system_sgpr_workgroup_id_x 1
		.amdhsa_system_sgpr_workgroup_id_y 0
		.amdhsa_system_sgpr_workgroup_id_z 0
		.amdhsa_system_sgpr_workgroup_info 0
		.amdhsa_system_vgpr_workitem_id 0
		.amdhsa_next_free_vgpr 14
		.amdhsa_next_free_sgpr 8
		.amdhsa_reserve_vcc 1
		.amdhsa_reserve_flat_scratch 0
		.amdhsa_float_round_mode_32 0
		.amdhsa_float_round_mode_16_64 0
		.amdhsa_float_denorm_mode_32 3
		.amdhsa_float_denorm_mode_16_64 3
		.amdhsa_dx10_clamp 1
		.amdhsa_ieee_mode 1
		.amdhsa_fp16_overflow 0
		.amdhsa_workgroup_processor_mode 1
		.amdhsa_memory_ordered 1
		.amdhsa_forward_progress 1
		.amdhsa_shared_vgpr_count 0
		.amdhsa_exception_fp_ieee_invalid_op 0
		.amdhsa_exception_fp_denorm_src 0
		.amdhsa_exception_fp_ieee_div_zero 0
		.amdhsa_exception_fp_ieee_overflow 0
		.amdhsa_exception_fp_ieee_underflow 0
		.amdhsa_exception_fp_ieee_inexact 0
		.amdhsa_exception_int_div_zero 0
	.end_amdhsa_kernel
	.section	.text._ZL21dequantize_block_q4_1IfEvPKvPT_i,"axG",@progbits,_ZL21dequantize_block_q4_1IfEvPKvPT_i,comdat
.Lfunc_end21:
	.size	_ZL21dequantize_block_q4_1IfEvPKvPT_i, .Lfunc_end21-_ZL21dequantize_block_q4_1IfEvPKvPT_i
                                        ; -- End function
	.set _ZL21dequantize_block_q4_1IfEvPKvPT_i.num_vgpr, 14
	.set _ZL21dequantize_block_q4_1IfEvPKvPT_i.num_agpr, 0
	.set _ZL21dequantize_block_q4_1IfEvPKvPT_i.numbered_sgpr, 8
	.set _ZL21dequantize_block_q4_1IfEvPKvPT_i.num_named_barrier, 0
	.set _ZL21dequantize_block_q4_1IfEvPKvPT_i.private_seg_size, 0
	.set _ZL21dequantize_block_q4_1IfEvPKvPT_i.uses_vcc, 1
	.set _ZL21dequantize_block_q4_1IfEvPKvPT_i.uses_flat_scratch, 0
	.set _ZL21dequantize_block_q4_1IfEvPKvPT_i.has_dyn_sized_stack, 0
	.set _ZL21dequantize_block_q4_1IfEvPKvPT_i.has_recursion, 0
	.set _ZL21dequantize_block_q4_1IfEvPKvPT_i.has_indirect_call, 0
	.section	.AMDGPU.csdata,"",@progbits
; Kernel info:
; codeLenInByte = 376
; TotalNumSgprs: 10
; NumVgprs: 14
; ScratchSize: 0
; MemoryBound: 0
; FloatMode: 240
; IeeeMode: 1
; LDSByteSize: 0 bytes/workgroup (compile time only)
; SGPRBlocks: 0
; VGPRBlocks: 1
; NumSGPRsForWavesPerEU: 10
; NumVGPRsForWavesPerEU: 14
; Occupancy: 16
; WaveLimiterHint : 0
; COMPUTE_PGM_RSRC2:SCRATCH_EN: 0
; COMPUTE_PGM_RSRC2:USER_SGPR: 6
; COMPUTE_PGM_RSRC2:TRAP_HANDLER: 0
; COMPUTE_PGM_RSRC2:TGID_X_EN: 1
; COMPUTE_PGM_RSRC2:TGID_Y_EN: 0
; COMPUTE_PGM_RSRC2:TGID_Z_EN: 0
; COMPUTE_PGM_RSRC2:TIDIG_COMP_CNT: 0
	.section	.text._ZL21dequantize_block_q2_KIfEvPKvPT_,"axG",@progbits,_ZL21dequantize_block_q2_KIfEvPKvPT_,comdat
	.globl	_ZL21dequantize_block_q2_KIfEvPKvPT_ ; -- Begin function _ZL21dequantize_block_q2_KIfEvPKvPT_
	.p2align	8
	.type	_ZL21dequantize_block_q2_KIfEvPKvPT_,@function
_ZL21dequantize_block_q2_KIfEvPKvPT_:   ; @_ZL21dequantize_block_q2_KIfEvPKvPT_
; %bb.0:
	s_load_dwordx4 s[0:3], s[4:5], 0x0
	v_lshrrev_b32_e32 v3, 5, v0
	s_mul_i32 s5, s6, 0x54
	s_mul_hi_u32 s4, s6, 0x54
	v_bfe_u32 v2, v0, 4, 1
	s_mov_b32 s7, 0
	v_lshlrev_b32_e32 v1, 3, v3
	s_waitcnt lgkmcnt(0)
	s_add_u32 s0, s0, s5
	s_addc_u32 s1, s1, s4
	v_add_co_u32 v1, s4, s0, v1
	v_add_co_ci_u32_e64 v4, null, s1, 0, s4
	global_load_ubyte v5, v0, s[0:1] offset:16
	v_add_co_u32 v1, vcc_lo, v1, v2
	v_add_co_ci_u32_e64 v2, null, 0, v4, vcc_lo
	v_and_b32_e32 v0, 31, v0
	s_clause 0x3
	global_load_ubyte v4, v[1:2], off
	global_load_ubyte v6, v[1:2], off offset:2
	global_load_ubyte v7, v[1:2], off offset:4
	;; [unrolled: 1-line block ×3, first 2 shown]
	s_load_dword s4, s[0:1], 0x50
	v_lshlrev_b32_e32 v2, 9, v3
	s_lshl_b64 s[0:1], s[6:7], 10
	v_lshlrev_b32_e32 v0, 2, v0
	s_add_u32 s0, s2, s0
	s_addc_u32 s1, s3, s1
	v_add_co_u32 v2, s0, s0, v2
	v_add_co_ci_u32_e64 v3, null, s1, 0, s0
	v_add_co_u32 v0, vcc_lo, v2, v0
	s_waitcnt lgkmcnt(0)
	s_lshr_b32 s0, s4, 16
	v_cvt_f32_f16_e32 v8, s4
	v_cvt_f32_f16_e32 v12, s0
	s_waitcnt vmcnt(4)
	v_and_b32_e32 v9, 3, v5
	v_bfe_u32 v10, v5, 2, 2
	v_bfe_u32 v11, v5, 4, 2
	v_lshrrev_b32_e32 v5, 6, v5
	v_cvt_f32_ubyte0_e32 v9, v9
	s_waitcnt vmcnt(3)
	v_and_b32_e32 v13, 15, v4
	v_lshrrev_b32_e32 v4, 4, v4
	s_waitcnt vmcnt(2)
	v_and_b32_e32 v14, 15, v6
	v_lshrrev_b32_e32 v6, 4, v6
	;; [unrolled: 3-line block ×4, first 2 shown]
	v_cvt_f32_ubyte0_e32 v13, v13
	v_cvt_f32_ubyte0_e32 v4, v4
	;; [unrolled: 1-line block ×8, first 2 shown]
	v_mul_f32_e32 v13, v8, v13
	v_mul_f32_e32 v4, v12, v4
	v_cvt_f32_ubyte0_e32 v10, v10
	v_mul_f32_e32 v14, v8, v14
	v_mul_f32_e32 v6, v12, v6
	v_cvt_f32_ubyte0_e32 v11, v11
	;; [unrolled: 3-line block ×3, first 2 shown]
	v_mul_f32_e32 v8, v8, v16
	v_mul_f32_e32 v12, v12, v1
	v_add_co_ci_u32_e64 v1, null, 0, v3, vcc_lo
	v_fma_f32 v2, v13, v9, -v4
	v_fma_f32 v3, v14, v10, -v6
	;; [unrolled: 1-line block ×4, first 2 shown]
	global_store_dword v[0:1], v2, off
	global_store_dword v[0:1], v3, off offset:128
	global_store_dword v[0:1], v4, off offset:256
	;; [unrolled: 1-line block ×3, first 2 shown]
	s_endpgm
	.section	.rodata,"a",@progbits
	.p2align	6, 0x0
	.amdhsa_kernel _ZL21dequantize_block_q2_KIfEvPKvPT_
		.amdhsa_group_segment_fixed_size 0
		.amdhsa_private_segment_fixed_size 0
		.amdhsa_kernarg_size 16
		.amdhsa_user_sgpr_count 6
		.amdhsa_user_sgpr_private_segment_buffer 1
		.amdhsa_user_sgpr_dispatch_ptr 0
		.amdhsa_user_sgpr_queue_ptr 0
		.amdhsa_user_sgpr_kernarg_segment_ptr 1
		.amdhsa_user_sgpr_dispatch_id 0
		.amdhsa_user_sgpr_flat_scratch_init 0
		.amdhsa_user_sgpr_private_segment_size 0
		.amdhsa_wavefront_size32 1
		.amdhsa_uses_dynamic_stack 0
		.amdhsa_system_sgpr_private_segment_wavefront_offset 0
		.amdhsa_system_sgpr_workgroup_id_x 1
		.amdhsa_system_sgpr_workgroup_id_y 0
		.amdhsa_system_sgpr_workgroup_id_z 0
		.amdhsa_system_sgpr_workgroup_info 0
		.amdhsa_system_vgpr_workitem_id 0
		.amdhsa_next_free_vgpr 17
		.amdhsa_next_free_sgpr 8
		.amdhsa_reserve_vcc 1
		.amdhsa_reserve_flat_scratch 0
		.amdhsa_float_round_mode_32 0
		.amdhsa_float_round_mode_16_64 0
		.amdhsa_float_denorm_mode_32 3
		.amdhsa_float_denorm_mode_16_64 3
		.amdhsa_dx10_clamp 1
		.amdhsa_ieee_mode 1
		.amdhsa_fp16_overflow 0
		.amdhsa_workgroup_processor_mode 1
		.amdhsa_memory_ordered 1
		.amdhsa_forward_progress 1
		.amdhsa_shared_vgpr_count 0
		.amdhsa_exception_fp_ieee_invalid_op 0
		.amdhsa_exception_fp_denorm_src 0
		.amdhsa_exception_fp_ieee_div_zero 0
		.amdhsa_exception_fp_ieee_overflow 0
		.amdhsa_exception_fp_ieee_underflow 0
		.amdhsa_exception_fp_ieee_inexact 0
		.amdhsa_exception_int_div_zero 0
	.end_amdhsa_kernel
	.section	.text._ZL21dequantize_block_q2_KIfEvPKvPT_,"axG",@progbits,_ZL21dequantize_block_q2_KIfEvPKvPT_,comdat
.Lfunc_end22:
	.size	_ZL21dequantize_block_q2_KIfEvPKvPT_, .Lfunc_end22-_ZL21dequantize_block_q2_KIfEvPKvPT_
                                        ; -- End function
	.set _ZL21dequantize_block_q2_KIfEvPKvPT_.num_vgpr, 17
	.set _ZL21dequantize_block_q2_KIfEvPKvPT_.num_agpr, 0
	.set _ZL21dequantize_block_q2_KIfEvPKvPT_.numbered_sgpr, 8
	.set _ZL21dequantize_block_q2_KIfEvPKvPT_.num_named_barrier, 0
	.set _ZL21dequantize_block_q2_KIfEvPKvPT_.private_seg_size, 0
	.set _ZL21dequantize_block_q2_KIfEvPKvPT_.uses_vcc, 1
	.set _ZL21dequantize_block_q2_KIfEvPKvPT_.uses_flat_scratch, 0
	.set _ZL21dequantize_block_q2_KIfEvPKvPT_.has_dyn_sized_stack, 0
	.set _ZL21dequantize_block_q2_KIfEvPKvPT_.has_recursion, 0
	.set _ZL21dequantize_block_q2_KIfEvPKvPT_.has_indirect_call, 0
	.section	.AMDGPU.csdata,"",@progbits
; Kernel info:
; codeLenInByte = 436
; TotalNumSgprs: 10
; NumVgprs: 17
; ScratchSize: 0
; MemoryBound: 0
; FloatMode: 240
; IeeeMode: 1
; LDSByteSize: 0 bytes/workgroup (compile time only)
; SGPRBlocks: 0
; VGPRBlocks: 2
; NumSGPRsForWavesPerEU: 10
; NumVGPRsForWavesPerEU: 17
; Occupancy: 16
; WaveLimiterHint : 0
; COMPUTE_PGM_RSRC2:SCRATCH_EN: 0
; COMPUTE_PGM_RSRC2:USER_SGPR: 6
; COMPUTE_PGM_RSRC2:TRAP_HANDLER: 0
; COMPUTE_PGM_RSRC2:TGID_X_EN: 1
; COMPUTE_PGM_RSRC2:TGID_Y_EN: 0
; COMPUTE_PGM_RSRC2:TGID_Z_EN: 0
; COMPUTE_PGM_RSRC2:TIDIG_COMP_CNT: 0
	.section	.text._ZL21dequantize_block_q3_KIfEvPKvPT_,"axG",@progbits,_ZL21dequantize_block_q3_KIfEvPKvPT_,comdat
	.globl	_ZL21dequantize_block_q3_KIfEvPKvPT_ ; -- Begin function _ZL21dequantize_block_q3_KIfEvPKvPT_
	.p2align	8
	.type	_ZL21dequantize_block_q3_KIfEvPKvPT_,@function
_ZL21dequantize_block_q3_KIfEvPKvPT_:   ; @_ZL21dequantize_block_q3_KIfEvPKvPT_
; %bb.0:
	v_lshrrev_b32_e32 v9, 5, v0
	v_lshrrev_b32_e32 v10, 3, v0
	;; [unrolled: 1-line block ×3, first 2 shown]
	v_bfe_u32 v11, v0, 2, 1
	s_mov_b32 s7, 0
	v_lshlrev_b32_e32 v1, 2, v9
	s_mov_b32 s8, exec_lo
	v_and_b32_e32 v5, 0xf8, v5
                                        ; implicit-def: $vgpr12
	v_sub_co_u32 v3, s0, v10, v1
	v_sub_co_ci_u32_e64 v4, null, 0, 0, s0
	s_load_dwordx4 s[0:3], s[4:5], 0x0
	s_mul_hi_u32 s4, s6, 0x6e
	s_mul_i32 s5, s6, 0x6e
	v_lshlrev_b64 v[1:2], 1, v[3:4]
	v_add_co_u32 v7, vcc_lo, v1, v5
	v_add_co_ci_u32_e64 v8, null, 0, v2, vcc_lo
                                        ; implicit-def: $vgpr2
	v_or_b32_e32 v5, v7, v11
	v_mov_b32_e32 v6, v8
	v_cmpx_lt_i64_e32 3, v[5:6]
	s_xor_b32 s8, exec_lo, s8
	s_cbranch_execz .LBB23_10
; %bb.1:
	s_mov_b32 s9, exec_lo
                                        ; implicit-def: $vgpr12
                                        ; implicit-def: $vgpr2
	v_cmpx_lt_u64_e32 7, v[7:8]
	s_xor_b32 s9, exec_lo, s9
	s_cbranch_execz .LBB23_7
; %bb.2:
	s_waitcnt lgkmcnt(0)
	s_add_u32 s10, s0, s5
	s_addc_u32 s11, s1, s4
	v_add_co_u32 v5, vcc_lo, s10, v5
	v_add_co_ci_u32_e64 v6, null, s11, v6, vcc_lo
	s_mov_b32 s10, exec_lo
                                        ; implicit-def: $vgpr2
	global_load_ubyte v12, v[5:6], off offset:88
	v_cmpx_lt_u64_e32 11, v[7:8]
	s_xor_b32 s10, exec_lo, s10
	s_cbranch_execz .LBB23_4
; %bb.3:
	global_load_ubyte v2, v[5:6], off offset:92
                                        ; implicit-def: $vgpr5_vgpr6
	s_waitcnt vmcnt(0)
	v_lshrrev_b16 v2, 2, v2
.LBB23_4:
	s_andn2_saveexec_b32 s10, s10
	s_cbranch_execz .LBB23_6
; %bb.5:
	global_load_ubyte v2, v[5:6], off offset:96
.LBB23_6:
	s_or_b32 exec_lo, exec_lo, s10
	s_waitcnt vmcnt(0)
	v_lshrrev_b16 v12, 4, v12
                                        ; implicit-def: $vgpr5_vgpr6
.LBB23_7:
	s_andn2_saveexec_b32 s9, s9
	s_cbranch_execz .LBB23_9
; %bb.8:
	s_waitcnt lgkmcnt(0)
	s_add_u32 s10, s0, s5
	s_addc_u32 s11, s1, s4
	v_add_co_u32 v5, vcc_lo, s10, v5
	v_add_co_ci_u32_e64 v6, null, s11, v6, vcc_lo
	s_clause 0x1
	global_load_ubyte v2, v[5:6], off offset:96
	global_load_ubyte v5, v[5:6], off offset:100
	s_waitcnt vmcnt(1)
	v_and_b32_e32 v12, 15, v2
	s_waitcnt vmcnt(0)
	v_lshlrev_b16 v2, 2, v5
.LBB23_9:
	s_or_b32 exec_lo, exec_lo, s9
                                        ; implicit-def: $vgpr5_vgpr6
.LBB23_10:
	s_andn2_saveexec_b32 s8, s8
	s_cbranch_execz .LBB23_12
; %bb.11:
	s_waitcnt lgkmcnt(0)
	s_add_u32 s9, s0, s5
	s_addc_u32 s10, s1, s4
	v_add_co_u32 v5, vcc_lo, s9, v5
	v_add_co_ci_u32_e64 v6, null, s10, v6, vcc_lo
	s_clause 0x1
	global_load_ubyte v2, v[5:6], off offset:96
	global_load_ubyte v5, v[5:6], off offset:104
	s_waitcnt vmcnt(1)
	v_and_b32_e32 v12, 15, v2
	s_waitcnt vmcnt(0)
	v_lshlrev_b16 v2, 4, v5
.LBB23_12:
	s_or_b32 exec_lo, exec_lo, s8
	v_lshlrev_b32_e32 v0, 2, v0
	v_lshlrev_b32_e32 v5, 5, v9
	s_waitcnt lgkmcnt(0)
	s_add_u32 s0, s0, s5
	s_addc_u32 s1, s1, s4
	v_lshlrev_b32_e64 v7, v10, 1
	v_and_b32_e32 v0, 12, v0
	v_and_b32_e32 v2, 48, v2
	v_mov_b32_e32 v10, 32
	v_lshlrev_b32_e32 v9, 9, v9
	v_lshl_or_b32 v8, v11, 4, v0
	v_add_co_u32 v0, s4, s0, v5
	v_add_co_ci_u32_e64 v6, null, s1, 0, s4
	v_or_b32_e32 v12, v2, v12
	v_add_co_u32 v5, vcc_lo, v0, v8
	v_add_co_ci_u32_e64 v6, null, 0, v6, vcc_lo
	v_mov_b32_e32 v0, 0
	s_clause 0x1
	global_load_ubyte v11, v8, s[0:1]
	global_load_ubyte v13, v[5:6], off offset:32
	s_lshl_b64 s[4:5], s[6:7], 10
	v_lshlrev_b64 v[2:3], 7, v[3:4]
	global_load_ushort v14, v0, s[0:1] offset:108
	v_sub_nc_u32_sdwa v4, v12, v10 dst_sel:DWORD dst_unused:UNUSED_PAD src0_sel:BYTE_0 src1_sel:DWORD
	s_add_u32 s2, s2, s4
	s_addc_u32 s3, s3, s5
	v_add_co_u32 v9, s2, s2, v9
	v_cvt_f32_i32_e32 v4, v4
	s_waitcnt vmcnt(2)
	v_and_b32_e32 v11, v7, v11
	s_waitcnt vmcnt(1)
	v_lshrrev_b32_e32 v10, v1, v13
	s_waitcnt vmcnt(0)
	v_cvt_f32_f16_e32 v12, v14
	v_cmp_eq_u32_e32 vcc_lo, 0, v11
	v_mul_f32_e32 v4, v12, v4
	v_cndmask_b32_e64 v11, 0, -4, vcc_lo
	v_add_co_u32 v2, vcc_lo, v9, v2
	v_lshlrev_b32_e32 v9, 2, v8
	v_or_b32_e32 v12, 1, v8
	v_and_or_b32 v10, v10, 3, v11
	v_add_co_ci_u32_e64 v11, null, s3, 0, s2
	s_mov_b32 s2, exec_lo
	v_cvt_f32_i32_e32 v10, v10
	v_add_co_ci_u32_e64 v3, null, v11, v3, vcc_lo
	v_add_co_u32 v2, vcc_lo, v2, v9
	v_add_nc_u32_e32 v11, 4, v8
	v_mul_f32_e32 v10, v4, v10
	v_add_co_ci_u32_e64 v3, null, 0, v3, vcc_lo
	global_store_dword v[2:3], v10, off
	v_cmpx_gt_u32_e64 v11, v12
	s_cbranch_execz .LBB23_14
; %bb.13:
	v_add_co_u32 v9, s2, s0, v8
	v_add_co_ci_u32_e64 v10, null, s1, 0, s2
	s_clause 0x3
	global_load_ubyte v11, v[5:6], off offset:33
	global_load_ushort v5, v[5:6], off offset:34
	global_load_ushort v6, v[9:10], off offset:2
	global_load_ubyte v8, v8, s[0:1] offset:1
	v_mov_b32_e32 v9, 0xffff
	s_waitcnt vmcnt(3)
	v_lshrrev_b32_e32 v10, v1, v11
	s_waitcnt vmcnt(2)
	v_and_b32_sdwa v11, v9, v5 dst_sel:DWORD dst_unused:UNUSED_PAD src0_sel:DWORD src1_sel:BYTE_1
	s_waitcnt vmcnt(1)
	v_and_b32_sdwa v9, v9, v6 dst_sel:DWORD dst_unused:UNUSED_PAD src0_sel:DWORD src1_sel:BYTE_1
	s_waitcnt vmcnt(0)
	v_and_b32_e32 v8, v7, v8
	v_and_b32_e32 v6, v6, v7
	v_lshrrev_b32_sdwa v5, v1, v5 dst_sel:DWORD dst_unused:UNUSED_PAD src0_sel:DWORD src1_sel:BYTE_0
	v_lshrrev_b32_e32 v1, v1, v11
	v_and_b32_e32 v7, v7, v9
	v_cmp_eq_u32_e32 vcc_lo, 0, v8
	v_cmp_eq_u32_sdwa s0, v6, v0 src0_sel:BYTE_0 src1_sel:DWORD
	v_cndmask_b32_e64 v8, 0, -4, vcc_lo
	v_cmp_eq_u32_e32 vcc_lo, 0, v7
	v_cndmask_b32_e64 v0, 0, -4, s0
	v_and_or_b32 v7, v10, 3, v8
	v_cndmask_b32_e64 v6, 0, -4, vcc_lo
	v_and_or_b32 v0, v5, 3, v0
	v_cvt_f32_i32_e32 v5, v7
	v_and_or_b32 v1, v1, 3, v6
	v_cvt_f32_i32_e32 v0, v0
	v_mul_f32_e32 v5, v4, v5
	v_cvt_f32_i32_e32 v1, v1
	v_mul_f32_e32 v0, v4, v0
	v_mul_f32_e32 v1, v4, v1
	global_store_dword v[2:3], v5, off offset:4
	global_store_dwordx2 v[2:3], v[0:1], off offset:8
.LBB23_14:
	s_endpgm
	.section	.rodata,"a",@progbits
	.p2align	6, 0x0
	.amdhsa_kernel _ZL21dequantize_block_q3_KIfEvPKvPT_
		.amdhsa_group_segment_fixed_size 0
		.amdhsa_private_segment_fixed_size 0
		.amdhsa_kernarg_size 16
		.amdhsa_user_sgpr_count 6
		.amdhsa_user_sgpr_private_segment_buffer 1
		.amdhsa_user_sgpr_dispatch_ptr 0
		.amdhsa_user_sgpr_queue_ptr 0
		.amdhsa_user_sgpr_kernarg_segment_ptr 1
		.amdhsa_user_sgpr_dispatch_id 0
		.amdhsa_user_sgpr_flat_scratch_init 0
		.amdhsa_user_sgpr_private_segment_size 0
		.amdhsa_wavefront_size32 1
		.amdhsa_uses_dynamic_stack 0
		.amdhsa_system_sgpr_private_segment_wavefront_offset 0
		.amdhsa_system_sgpr_workgroup_id_x 1
		.amdhsa_system_sgpr_workgroup_id_y 0
		.amdhsa_system_sgpr_workgroup_id_z 0
		.amdhsa_system_sgpr_workgroup_info 0
		.amdhsa_system_vgpr_workitem_id 0
		.amdhsa_next_free_vgpr 15
		.amdhsa_next_free_sgpr 12
		.amdhsa_reserve_vcc 1
		.amdhsa_reserve_flat_scratch 0
		.amdhsa_float_round_mode_32 0
		.amdhsa_float_round_mode_16_64 0
		.amdhsa_float_denorm_mode_32 3
		.amdhsa_float_denorm_mode_16_64 3
		.amdhsa_dx10_clamp 1
		.amdhsa_ieee_mode 1
		.amdhsa_fp16_overflow 0
		.amdhsa_workgroup_processor_mode 1
		.amdhsa_memory_ordered 1
		.amdhsa_forward_progress 1
		.amdhsa_shared_vgpr_count 0
		.amdhsa_exception_fp_ieee_invalid_op 0
		.amdhsa_exception_fp_denorm_src 0
		.amdhsa_exception_fp_ieee_div_zero 0
		.amdhsa_exception_fp_ieee_overflow 0
		.amdhsa_exception_fp_ieee_underflow 0
		.amdhsa_exception_fp_ieee_inexact 0
		.amdhsa_exception_int_div_zero 0
	.end_amdhsa_kernel
	.section	.text._ZL21dequantize_block_q3_KIfEvPKvPT_,"axG",@progbits,_ZL21dequantize_block_q3_KIfEvPKvPT_,comdat
.Lfunc_end23:
	.size	_ZL21dequantize_block_q3_KIfEvPKvPT_, .Lfunc_end23-_ZL21dequantize_block_q3_KIfEvPKvPT_
                                        ; -- End function
	.set _ZL21dequantize_block_q3_KIfEvPKvPT_.num_vgpr, 15
	.set _ZL21dequantize_block_q3_KIfEvPKvPT_.num_agpr, 0
	.set _ZL21dequantize_block_q3_KIfEvPKvPT_.numbered_sgpr, 12
	.set _ZL21dequantize_block_q3_KIfEvPKvPT_.num_named_barrier, 0
	.set _ZL21dequantize_block_q3_KIfEvPKvPT_.private_seg_size, 0
	.set _ZL21dequantize_block_q3_KIfEvPKvPT_.uses_vcc, 1
	.set _ZL21dequantize_block_q3_KIfEvPKvPT_.uses_flat_scratch, 0
	.set _ZL21dequantize_block_q3_KIfEvPKvPT_.has_dyn_sized_stack, 0
	.set _ZL21dequantize_block_q3_KIfEvPKvPT_.has_recursion, 0
	.set _ZL21dequantize_block_q3_KIfEvPKvPT_.has_indirect_call, 0
	.section	.AMDGPU.csdata,"",@progbits
; Kernel info:
; codeLenInByte = 924
; TotalNumSgprs: 14
; NumVgprs: 15
; ScratchSize: 0
; MemoryBound: 0
; FloatMode: 240
; IeeeMode: 1
; LDSByteSize: 0 bytes/workgroup (compile time only)
; SGPRBlocks: 0
; VGPRBlocks: 1
; NumSGPRsForWavesPerEU: 14
; NumVGPRsForWavesPerEU: 15
; Occupancy: 16
; WaveLimiterHint : 0
; COMPUTE_PGM_RSRC2:SCRATCH_EN: 0
; COMPUTE_PGM_RSRC2:USER_SGPR: 6
; COMPUTE_PGM_RSRC2:TRAP_HANDLER: 0
; COMPUTE_PGM_RSRC2:TGID_X_EN: 1
; COMPUTE_PGM_RSRC2:TGID_Y_EN: 0
; COMPUTE_PGM_RSRC2:TGID_Z_EN: 0
; COMPUTE_PGM_RSRC2:TIDIG_COMP_CNT: 0
	.section	.text._ZL21dequantize_block_q4_KIfEvPKvPT_,"axG",@progbits,_ZL21dequantize_block_q4_KIfEvPKvPT_,comdat
	.globl	_ZL21dequantize_block_q4_KIfEvPKvPT_ ; -- Begin function _ZL21dequantize_block_q4_KIfEvPKvPT_
	.p2align	8
	.type	_ZL21dequantize_block_q4_KIfEvPKvPT_,@function
_ZL21dequantize_block_q4_KIfEvPKvPT_:   ; @_ZL21dequantize_block_q4_KIfEvPKvPT_
; %bb.0:
	s_load_dwordx2 s[0:1], s[4:5], 0x0
	v_lshrrev_b32_e32 v3, 3, v0
	s_mul_i32 s2, s6, 0x90
	s_mul_hi_u32 s3, s6, 0x90
	v_cmp_lt_u32_e32 vcc_lo, 15, v0
                                        ; implicit-def: $vgpr5
                                        ; implicit-def: $vgpr4
	v_lshlrev_b32_e32 v1, 1, v3
	s_waitcnt lgkmcnt(0)
	s_add_u32 s2, s0, s2
	s_addc_u32 s3, s1, s3
	v_add_co_u32 v1, s0, s2, v1
	v_add_co_ci_u32_e64 v2, null, s3, 0, s0
	s_and_saveexec_b32 s0, vcc_lo
	s_xor_b32 s0, exec_lo, s0
	s_cbranch_execz .LBB24_2
; %bb.1:
	s_clause 0x2
	global_load_ubyte v4, v[1:2], off
	global_load_ubyte v5, v[1:2], off offset:4
	global_load_ubyte v6, v[1:2], off offset:8
	s_waitcnt vmcnt(2)
	v_lshrrev_b16 v4, 2, v4
	s_waitcnt vmcnt(1)
	v_lshrrev_b16 v5, 2, v5
	s_waitcnt vmcnt(0)
	v_and_b32_e32 v7, 15, v6
	v_lshrrev_b16 v6, 4, v6
	v_and_b32_e32 v4, 48, v4
	v_and_b32_e32 v5, 48, v5
	v_or_b32_e32 v4, v4, v7
	v_or_b32_e32 v5, v5, v6
.LBB24_2:
	s_andn2_saveexec_b32 s0, s0
	s_cbranch_execz .LBB24_4
; %bb.3:
	s_clause 0x1
	global_load_ubyte v4, v[1:2], off offset:4
	global_load_ubyte v5, v[1:2], off offset:8
	s_waitcnt vmcnt(1)
	v_and_b32_e32 v4, 63, v4
	s_waitcnt vmcnt(0)
	v_and_b32_e32 v5, 63, v5
.LBB24_4:
	s_or_b32 exec_lo, exec_lo, s0
	s_load_dwordx2 s[0:1], s[4:5], 0x8
	s_load_dword s2, s[2:3], 0x0
	s_mov_b32 s7, 0
                                        ; implicit-def: $vgpr7
                                        ; implicit-def: $vgpr6
	s_and_saveexec_b32 s3, vcc_lo
	s_xor_b32 s3, exec_lo, s3
	s_cbranch_execz .LBB24_6
; %bb.5:
	s_clause 0x2
	global_load_ubyte v6, v[1:2], off offset:1
	global_load_ubyte v7, v[1:2], off offset:5
	;; [unrolled: 1-line block ×3, first 2 shown]
	s_waitcnt vmcnt(2)
	v_lshrrev_b16 v6, 2, v6
	s_waitcnt vmcnt(1)
	v_lshrrev_b16 v7, 2, v7
	s_waitcnt vmcnt(0)
	v_and_b32_e32 v9, 15, v8
	v_lshrrev_b16 v8, 4, v8
	v_and_b32_e32 v6, 48, v6
	v_and_b32_e32 v7, 48, v7
	v_or_b32_e32 v6, v6, v9
	v_or_b32_e32 v7, v7, v8
.LBB24_6:
	s_andn2_saveexec_b32 s3, s3
	s_cbranch_execz .LBB24_8
; %bb.7:
	s_clause 0x1
	global_load_ubyte v6, v[1:2], off offset:5
	global_load_ubyte v7, v[1:2], off offset:9
	s_waitcnt vmcnt(1)
	v_and_b32_e32 v6, 63, v6
	s_waitcnt vmcnt(0)
	v_and_b32_e32 v7, 63, v7
.LBB24_8:
	s_or_b32 exec_lo, exec_lo, s3
	v_lshlrev_b32_e32 v8, 2, v0
	v_mad_u64_u32 v[0:1], null, v3, 30, v[1:2]
	s_waitcnt lgkmcnt(0)
	s_lshr_b32 s4, s2, 16
	v_cvt_f32_ubyte0_e32 v4, v4
	v_and_b32_e32 v2, 28, v8
	v_lshlrev_b32_e32 v3, 8, v3
	v_cvt_f32_ubyte0_e32 v6, v6
	v_cvt_f32_f16_e32 v8, s4
	v_cvt_f32_ubyte0_e32 v7, v7
	v_add_co_u32 v0, vcc_lo, v0, v2
	v_add_co_ci_u32_e64 v1, null, 0, v1, vcc_lo
	v_lshlrev_b32_e32 v2, 2, v2
	v_mul_f32_e32 v7, v8, v7
	global_load_dword v0, v[0:1], off offset:16
	v_cvt_f32_ubyte0_e32 v1, v5
	v_cvt_f32_f16_e32 v5, s2
	s_lshl_b64 s[2:3], s[6:7], 10
	s_add_u32 s0, s0, s2
	s_addc_u32 s1, s1, s3
	v_mul_f32_e32 v4, v5, v4
	v_add_co_u32 v3, s0, s0, v3
	v_mul_f32_e32 v10, v5, v6
	v_mul_f32_e32 v5, v8, v1
	v_add_co_ci_u32_e64 v9, null, s1, 0, s0
	v_add_co_u32 v8, vcc_lo, v3, v2
	v_add_co_ci_u32_e64 v9, null, 0, v9, vcc_lo
	s_waitcnt vmcnt(0)
	v_lshrrev_b32_e32 v1, 8, v0
	v_lshrrev_b32_e32 v2, 24, v0
	v_lshrrev_b16 v6, 4, v0
	v_bfe_u32 v11, v0, 8, 4
	v_bfe_u32 v12, v0, 16, 4
	v_lshrrev_b16 v1, 4, v1
	v_and_b32_e32 v3, 15, v0
	v_bfe_u32 v13, v0, 20, 4
	v_bfe_u32 v0, v0, 24, 4
	v_and_b32_e32 v6, 15, v6
	v_cvt_f32_ubyte0_e32 v11, v11
	v_cvt_f32_ubyte0_e32 v12, v12
	v_lshrrev_b16 v15, 4, v2
	v_and_b32_e32 v16, 15, v1
	v_cvt_f32_ubyte0_e32 v3, v3
	v_cvt_f32_ubyte0_e32 v14, v0
	;; [unrolled: 1-line block ×4, first 2 shown]
	v_fma_f32 v1, v4, v11, -v5
	v_fma_f32 v2, v4, v12, -v5
	v_cvt_f32_ubyte0_e32 v11, v16
	v_cvt_f32_ubyte0_e32 v12, v15
	v_fma_f32 v0, v4, v3, -v5
	v_fma_f32 v3, v4, v14, -v5
	;; [unrolled: 1-line block ×6, first 2 shown]
	global_store_dwordx4 v[8:9], v[0:3], off
	global_store_dwordx4 v[8:9], v[4:7], off offset:128
	s_endpgm
	.section	.rodata,"a",@progbits
	.p2align	6, 0x0
	.amdhsa_kernel _ZL21dequantize_block_q4_KIfEvPKvPT_
		.amdhsa_group_segment_fixed_size 0
		.amdhsa_private_segment_fixed_size 0
		.amdhsa_kernarg_size 16
		.amdhsa_user_sgpr_count 6
		.amdhsa_user_sgpr_private_segment_buffer 1
		.amdhsa_user_sgpr_dispatch_ptr 0
		.amdhsa_user_sgpr_queue_ptr 0
		.amdhsa_user_sgpr_kernarg_segment_ptr 1
		.amdhsa_user_sgpr_dispatch_id 0
		.amdhsa_user_sgpr_flat_scratch_init 0
		.amdhsa_user_sgpr_private_segment_size 0
		.amdhsa_wavefront_size32 1
		.amdhsa_uses_dynamic_stack 0
		.amdhsa_system_sgpr_private_segment_wavefront_offset 0
		.amdhsa_system_sgpr_workgroup_id_x 1
		.amdhsa_system_sgpr_workgroup_id_y 0
		.amdhsa_system_sgpr_workgroup_id_z 0
		.amdhsa_system_sgpr_workgroup_info 0
		.amdhsa_system_vgpr_workitem_id 0
		.amdhsa_next_free_vgpr 18
		.amdhsa_next_free_sgpr 8
		.amdhsa_reserve_vcc 1
		.amdhsa_reserve_flat_scratch 0
		.amdhsa_float_round_mode_32 0
		.amdhsa_float_round_mode_16_64 0
		.amdhsa_float_denorm_mode_32 3
		.amdhsa_float_denorm_mode_16_64 3
		.amdhsa_dx10_clamp 1
		.amdhsa_ieee_mode 1
		.amdhsa_fp16_overflow 0
		.amdhsa_workgroup_processor_mode 1
		.amdhsa_memory_ordered 1
		.amdhsa_forward_progress 1
		.amdhsa_shared_vgpr_count 0
		.amdhsa_exception_fp_ieee_invalid_op 0
		.amdhsa_exception_fp_denorm_src 0
		.amdhsa_exception_fp_ieee_div_zero 0
		.amdhsa_exception_fp_ieee_overflow 0
		.amdhsa_exception_fp_ieee_underflow 0
		.amdhsa_exception_fp_ieee_inexact 0
		.amdhsa_exception_int_div_zero 0
	.end_amdhsa_kernel
	.section	.text._ZL21dequantize_block_q4_KIfEvPKvPT_,"axG",@progbits,_ZL21dequantize_block_q4_KIfEvPKvPT_,comdat
.Lfunc_end24:
	.size	_ZL21dequantize_block_q4_KIfEvPKvPT_, .Lfunc_end24-_ZL21dequantize_block_q4_KIfEvPKvPT_
                                        ; -- End function
	.set _ZL21dequantize_block_q4_KIfEvPKvPT_.num_vgpr, 18
	.set _ZL21dequantize_block_q4_KIfEvPKvPT_.num_agpr, 0
	.set _ZL21dequantize_block_q4_KIfEvPKvPT_.numbered_sgpr, 8
	.set _ZL21dequantize_block_q4_KIfEvPKvPT_.num_named_barrier, 0
	.set _ZL21dequantize_block_q4_KIfEvPKvPT_.private_seg_size, 0
	.set _ZL21dequantize_block_q4_KIfEvPKvPT_.uses_vcc, 1
	.set _ZL21dequantize_block_q4_KIfEvPKvPT_.uses_flat_scratch, 0
	.set _ZL21dequantize_block_q4_KIfEvPKvPT_.has_dyn_sized_stack, 0
	.set _ZL21dequantize_block_q4_KIfEvPKvPT_.has_recursion, 0
	.set _ZL21dequantize_block_q4_KIfEvPKvPT_.has_indirect_call, 0
	.section	.AMDGPU.csdata,"",@progbits
; Kernel info:
; codeLenInByte = 708
; TotalNumSgprs: 10
; NumVgprs: 18
; ScratchSize: 0
; MemoryBound: 0
; FloatMode: 240
; IeeeMode: 1
; LDSByteSize: 0 bytes/workgroup (compile time only)
; SGPRBlocks: 0
; VGPRBlocks: 2
; NumSGPRsForWavesPerEU: 10
; NumVGPRsForWavesPerEU: 18
; Occupancy: 16
; WaveLimiterHint : 1
; COMPUTE_PGM_RSRC2:SCRATCH_EN: 0
; COMPUTE_PGM_RSRC2:USER_SGPR: 6
; COMPUTE_PGM_RSRC2:TRAP_HANDLER: 0
; COMPUTE_PGM_RSRC2:TGID_X_EN: 1
; COMPUTE_PGM_RSRC2:TGID_Y_EN: 0
; COMPUTE_PGM_RSRC2:TGID_Z_EN: 0
; COMPUTE_PGM_RSRC2:TIDIG_COMP_CNT: 0
	.section	.text._ZL21dequantize_block_q5_KIfEvPKvPT_,"axG",@progbits,_ZL21dequantize_block_q5_KIfEvPKvPT_,comdat
	.globl	_ZL21dequantize_block_q5_KIfEvPKvPT_ ; -- Begin function _ZL21dequantize_block_q5_KIfEvPKvPT_
	.p2align	8
	.type	_ZL21dequantize_block_q5_KIfEvPKvPT_,@function
_ZL21dequantize_block_q5_KIfEvPKvPT_:   ; @_ZL21dequantize_block_q5_KIfEvPKvPT_
; %bb.0:
	s_load_dwordx2 s[0:1], s[4:5], 0x0
	v_lshrrev_b32_e32 v4, 4, v0
	s_mul_i32 s3, s6, 0xb0
	s_mul_hi_u32 s2, s6, 0xb0
	v_cmp_lt_u32_e32 vcc_lo, 31, v0
                                        ; implicit-def: $vgpr6
                                        ; implicit-def: $vgpr5
	v_lshlrev_b32_e32 v3, 1, v4
	s_waitcnt lgkmcnt(0)
	s_add_u32 s0, s0, s3
	s_addc_u32 s1, s1, s2
	v_add_co_u32 v1, s2, s0, v3
	v_add_co_ci_u32_e64 v2, null, s1, 0, s2
	s_and_saveexec_b32 s2, vcc_lo
	s_xor_b32 s2, exec_lo, s2
	s_cbranch_execz .LBB25_2
; %bb.1:
	s_clause 0x2
	global_load_ubyte v5, v[1:2], off
	global_load_ubyte v6, v[1:2], off offset:4
	global_load_ubyte v7, v[1:2], off offset:8
	s_waitcnt vmcnt(2)
	v_lshrrev_b16 v5, 2, v5
	s_waitcnt vmcnt(1)
	v_lshrrev_b16 v6, 2, v6
	s_waitcnt vmcnt(0)
	v_and_b32_e32 v8, 15, v7
	v_lshrrev_b16 v7, 4, v7
	v_and_b32_e32 v5, 48, v5
	v_and_b32_e32 v6, 48, v6
	v_or_b32_e32 v5, v5, v8
	v_or_b32_e32 v6, v6, v7
.LBB25_2:
	s_andn2_saveexec_b32 s2, s2
	s_cbranch_execz .LBB25_4
; %bb.3:
	s_clause 0x1
	global_load_ubyte v5, v[1:2], off offset:4
	global_load_ubyte v6, v[1:2], off offset:8
	s_waitcnt vmcnt(1)
	v_and_b32_e32 v5, 63, v5
	s_waitcnt vmcnt(0)
	v_and_b32_e32 v6, 63, v6
.LBB25_4:
	s_or_b32 exec_lo, exec_lo, s2
	s_load_dwordx2 s[2:3], s[4:5], 0x8
	s_load_dword s4, s[0:1], 0x0
	s_mov_b32 s7, 0
                                        ; implicit-def: $vgpr8
                                        ; implicit-def: $vgpr7
	s_and_saveexec_b32 s5, vcc_lo
	s_xor_b32 s5, exec_lo, s5
	s_cbranch_execz .LBB25_6
; %bb.5:
	s_clause 0x2
	global_load_ubyte v7, v[1:2], off offset:1
	global_load_ubyte v8, v[1:2], off offset:5
	global_load_ubyte v9, v[1:2], off offset:9
	s_waitcnt vmcnt(2)
	v_lshrrev_b16 v7, 2, v7
	s_waitcnt vmcnt(1)
	v_lshrrev_b16 v8, 2, v8
	s_waitcnt vmcnt(0)
	v_and_b32_e32 v10, 15, v9
	v_lshrrev_b16 v9, 4, v9
	v_and_b32_e32 v7, 48, v7
	v_and_b32_e32 v8, 48, v8
	v_or_b32_e32 v7, v7, v10
	v_or_b32_e32 v8, v8, v9
.LBB25_6:
	s_andn2_saveexec_b32 s5, s5
	s_cbranch_execz .LBB25_8
; %bb.7:
	s_clause 0x1
	global_load_ubyte v7, v[1:2], off offset:5
	global_load_ubyte v8, v[1:2], off offset:9
	s_waitcnt vmcnt(1)
	v_and_b32_e32 v7, 63, v7
	s_waitcnt vmcnt(0)
	v_and_b32_e32 v8, 63, v8
.LBB25_8:
	s_or_b32 exec_lo, exec_lo, s5
	v_lshlrev_b32_e32 v9, 1, v0
	v_mad_u64_u32 v[0:1], null, v4, 30, v[1:2]
	v_lshlrev_b32_e64 v10, v3, 1
	v_mov_b32_e32 v12, 0xffff
	v_and_b32_e32 v2, 30, v9
	v_lshlrev_b32_e64 v3, v3, 2
	s_waitcnt lgkmcnt(0)
	v_cvt_f32_f16_e32 v9, s4
	v_cvt_f32_ubyte0_e32 v5, v5
	v_cvt_f32_ubyte0_e32 v7, v7
	v_add_co_u32 v0, vcc_lo, v0, v2
	v_add_co_ci_u32_e64 v1, null, 0, v1, vcc_lo
	v_mov_b32_e32 v11, 15
	v_mul_f32_e32 v5, v9, v5
	v_mul_f32_e32 v7, v9, v7
	s_clause 0x1
	global_load_ushort v0, v[0:1], off offset:48
	global_load_ushort v1, v2, s[0:1] offset:16
	s_lshr_b32 s5, s4, 16
	v_lshlrev_b32_e32 v4, 8, v4
	s_lshl_b64 s[0:1], s[6:7], 10
	v_cvt_f32_ubyte0_e32 v6, v6
	v_cvt_f32_f16_e32 v13, s5
	v_cvt_f32_ubyte0_e32 v8, v8
	s_add_u32 s0, s2, s0
	s_addc_u32 s1, s3, s1
	v_add_co_u32 v4, s0, s0, v4
	v_lshlrev_b32_e32 v2, 2, v2
	v_add_co_ci_u32_e64 v14, null, s1, 0, s0
	v_mul_f32_e32 v6, v13, v6
	v_mul_f32_e32 v8, v13, v8
	s_waitcnt vmcnt(1)
	v_lshrrev_b16 v16, 4, v0
	s_waitcnt vmcnt(0)
	v_and_b32_sdwa v15, v10, v1 dst_sel:DWORD dst_unused:UNUSED_PAD src0_sel:DWORD src1_sel:BYTE_0
	v_and_b32_sdwa v12, v12, v1 dst_sel:DWORD dst_unused:UNUSED_PAD src0_sel:DWORD src1_sel:BYTE_1
	v_and_b32_sdwa v1, v3, v1 dst_sel:DWORD dst_unused:UNUSED_PAD src0_sel:DWORD src1_sel:BYTE_0
	v_and_b32_e32 v9, 15, v0
	v_and_b32_sdwa v11, v0, v11 dst_sel:DWORD dst_unused:UNUSED_PAD src0_sel:BYTE_1 src1_sel:DWORD
	v_cmp_eq_u32_e32 vcc_lo, 0, v15
	v_and_b32_e32 v10, v10, v12
	v_and_b32_e32 v3, v3, v12
	v_lshrrev_b16 v0, 12, v0
	v_and_b32_e32 v16, 15, v16
	v_cndmask_b32_e64 v15, 16, 0, vcc_lo
	v_cmp_eq_u32_e32 vcc_lo, 0, v1
	v_or_b32_e32 v9, v15, v9
	v_cndmask_b32_e64 v1, 16, 0, vcc_lo
	v_cmp_eq_u32_e32 vcc_lo, 0, v10
	v_or_b32_e32 v1, v1, v16
	;; [unrolled: 3-line block ×3, first 2 shown]
	v_cndmask_b32_e64 v3, 16, 0, vcc_lo
	v_cvt_f32_ubyte0_e32 v10, v10
	v_or_b32_e32 v0, v3, v0
	v_cvt_f32_ubyte0_e32 v3, v9
	v_cvt_f32_ubyte0_e32 v9, v1
	;; [unrolled: 1-line block ×3, first 2 shown]
	v_add_co_u32 v0, vcc_lo, v4, v2
	v_add_co_ci_u32_e64 v1, null, 0, v14, vcc_lo
	v_fma_f32 v2, v5, v3, -v6
	v_fma_f32 v3, v5, v10, -v6
	;; [unrolled: 1-line block ×4, first 2 shown]
	global_store_dwordx2 v[0:1], v[2:3], off
	global_store_dwordx2 v[0:1], v[4:5], off offset:128
	s_endpgm
	.section	.rodata,"a",@progbits
	.p2align	6, 0x0
	.amdhsa_kernel _ZL21dequantize_block_q5_KIfEvPKvPT_
		.amdhsa_group_segment_fixed_size 0
		.amdhsa_private_segment_fixed_size 0
		.amdhsa_kernarg_size 16
		.amdhsa_user_sgpr_count 6
		.amdhsa_user_sgpr_private_segment_buffer 1
		.amdhsa_user_sgpr_dispatch_ptr 0
		.amdhsa_user_sgpr_queue_ptr 0
		.amdhsa_user_sgpr_kernarg_segment_ptr 1
		.amdhsa_user_sgpr_dispatch_id 0
		.amdhsa_user_sgpr_flat_scratch_init 0
		.amdhsa_user_sgpr_private_segment_size 0
		.amdhsa_wavefront_size32 1
		.amdhsa_uses_dynamic_stack 0
		.amdhsa_system_sgpr_private_segment_wavefront_offset 0
		.amdhsa_system_sgpr_workgroup_id_x 1
		.amdhsa_system_sgpr_workgroup_id_y 0
		.amdhsa_system_sgpr_workgroup_id_z 0
		.amdhsa_system_sgpr_workgroup_info 0
		.amdhsa_system_vgpr_workitem_id 0
		.amdhsa_next_free_vgpr 17
		.amdhsa_next_free_sgpr 8
		.amdhsa_reserve_vcc 1
		.amdhsa_reserve_flat_scratch 0
		.amdhsa_float_round_mode_32 0
		.amdhsa_float_round_mode_16_64 0
		.amdhsa_float_denorm_mode_32 3
		.amdhsa_float_denorm_mode_16_64 3
		.amdhsa_dx10_clamp 1
		.amdhsa_ieee_mode 1
		.amdhsa_fp16_overflow 0
		.amdhsa_workgroup_processor_mode 1
		.amdhsa_memory_ordered 1
		.amdhsa_forward_progress 1
		.amdhsa_shared_vgpr_count 0
		.amdhsa_exception_fp_ieee_invalid_op 0
		.amdhsa_exception_fp_denorm_src 0
		.amdhsa_exception_fp_ieee_div_zero 0
		.amdhsa_exception_fp_ieee_overflow 0
		.amdhsa_exception_fp_ieee_underflow 0
		.amdhsa_exception_fp_ieee_inexact 0
		.amdhsa_exception_int_div_zero 0
	.end_amdhsa_kernel
	.section	.text._ZL21dequantize_block_q5_KIfEvPKvPT_,"axG",@progbits,_ZL21dequantize_block_q5_KIfEvPKvPT_,comdat
.Lfunc_end25:
	.size	_ZL21dequantize_block_q5_KIfEvPKvPT_, .Lfunc_end25-_ZL21dequantize_block_q5_KIfEvPKvPT_
                                        ; -- End function
	.set _ZL21dequantize_block_q5_KIfEvPKvPT_.num_vgpr, 17
	.set _ZL21dequantize_block_q5_KIfEvPKvPT_.num_agpr, 0
	.set _ZL21dequantize_block_q5_KIfEvPKvPT_.numbered_sgpr, 8
	.set _ZL21dequantize_block_q5_KIfEvPKvPT_.num_named_barrier, 0
	.set _ZL21dequantize_block_q5_KIfEvPKvPT_.private_seg_size, 0
	.set _ZL21dequantize_block_q5_KIfEvPKvPT_.uses_vcc, 1
	.set _ZL21dequantize_block_q5_KIfEvPKvPT_.uses_flat_scratch, 0
	.set _ZL21dequantize_block_q5_KIfEvPKvPT_.has_dyn_sized_stack, 0
	.set _ZL21dequantize_block_q5_KIfEvPKvPT_.has_recursion, 0
	.set _ZL21dequantize_block_q5_KIfEvPKvPT_.has_indirect_call, 0
	.section	.AMDGPU.csdata,"",@progbits
; Kernel info:
; codeLenInByte = 756
; TotalNumSgprs: 10
; NumVgprs: 17
; ScratchSize: 0
; MemoryBound: 0
; FloatMode: 240
; IeeeMode: 1
; LDSByteSize: 0 bytes/workgroup (compile time only)
; SGPRBlocks: 0
; VGPRBlocks: 2
; NumSGPRsForWavesPerEU: 10
; NumVGPRsForWavesPerEU: 17
; Occupancy: 16
; WaveLimiterHint : 1
; COMPUTE_PGM_RSRC2:SCRATCH_EN: 0
; COMPUTE_PGM_RSRC2:USER_SGPR: 6
; COMPUTE_PGM_RSRC2:TRAP_HANDLER: 0
; COMPUTE_PGM_RSRC2:TGID_X_EN: 1
; COMPUTE_PGM_RSRC2:TGID_Y_EN: 0
; COMPUTE_PGM_RSRC2:TGID_Z_EN: 0
; COMPUTE_PGM_RSRC2:TIDIG_COMP_CNT: 0
	.section	.text._ZL21dequantize_block_q6_KIfEvPKvPT_,"axG",@progbits,_ZL21dequantize_block_q6_KIfEvPKvPT_,comdat
	.globl	_ZL21dequantize_block_q6_KIfEvPKvPT_ ; -- Begin function _ZL21dequantize_block_q6_KIfEvPKvPT_
	.p2align	8
	.type	_ZL21dequantize_block_q6_KIfEvPKvPT_,@function
_ZL21dequantize_block_q6_KIfEvPKvPT_:   ; @_ZL21dequantize_block_q6_KIfEvPKvPT_
; %bb.0:
	s_load_dwordx4 s[0:3], s[4:5], 0x0
	v_lshrrev_b32_e32 v4, 5, v0
	s_mov_b32 s7, 0
	v_mov_b32_e32 v1, 0
	s_lshl_b64 s[4:5], s[6:7], 10
	s_mul_hi_u32 s7, s6, 0xd2
	v_lshlrev_b32_e32 v3, 6, v4
	s_mulk_i32 s6, 0xd2
	v_mul_i32_i24_e32 v7, 0xffffffc8, v4
	v_mul_hi_i32_i24_e32 v6, 0xffffffc8, v4
	v_and_b32_e32 v5, 31, v0
	v_bfe_u32 v2, v0, 4, 1
	s_waitcnt lgkmcnt(0)
	s_add_u32 s2, s2, s4
	s_addc_u32 s3, s3, s5
	s_add_u32 s0, s0, s6
	s_addc_u32 s1, s1, s7
	v_add_co_u32 v3, s4, s0, v3
	v_add_co_ci_u32_e64 v8, null, s1, 0, s4
	s_clause 0x1
	global_load_ushort v9, v1, s[0:1] offset:208
	global_load_ubyte v10, v0, s[0:1] offset:128
	v_add_co_u32 v7, vcc_lo, v3, v7
	v_add_co_ci_u32_e64 v6, null, v8, v6, vcc_lo
	v_add_co_u32 v0, vcc_lo, v3, v5
	v_add_co_ci_u32_e64 v1, null, 0, v8, vcc_lo
	v_add_co_u32 v2, vcc_lo, v7, v2
	v_add_co_ci_u32_e64 v3, null, 0, v6, vcc_lo
	s_clause 0x5
	global_load_ubyte v6, v[0:1], off
	global_load_sbyte v7, v[2:3], off offset:192
	global_load_sbyte v8, v[2:3], off offset:194
	;; [unrolled: 1-line block ×4, first 2 shown]
	global_load_ubyte v0, v[0:1], off offset:32
	v_mov_b32_e32 v3, 32
	v_lshlrev_b32_e32 v1, 9, v4
	v_lshlrev_b32_e32 v4, 2, v5
	v_add_co_u32 v1, s0, s2, v1
	v_add_co_ci_u32_e64 v5, null, s3, 0, s0
	s_waitcnt vmcnt(7)
	v_cvt_f32_f16_e32 v9, v9
	s_waitcnt vmcnt(6)
	v_lshlrev_b16 v12, 4, v10
	v_lshlrev_b16 v13, 2, v10
	v_lshrrev_b16 v14, 2, v10
	v_and_b32_e32 v10, 48, v10
	v_and_b32_e32 v12, 48, v12
	;; [unrolled: 1-line block ×4, first 2 shown]
	s_waitcnt vmcnt(5)
	v_and_b32_e32 v15, 15, v6
	v_lshrrev_b16 v6, 4, v6
	s_waitcnt vmcnt(4)
	v_cvt_f32_i32_e32 v7, v7
	s_waitcnt vmcnt(2)
	v_cvt_f32_i32_e32 v11, v11
	v_cvt_f32_i32_e32 v8, v8
	v_or_b32_e32 v12, v15, v12
	s_waitcnt vmcnt(0)
	v_and_b32_e32 v15, 15, v0
	v_lshrrev_b16 v0, 4, v0
	v_or_b32_e32 v6, v6, v10
	v_cvt_f32_i32_e32 v2, v2
	v_sub_nc_u32_sdwa v10, v12, v3 dst_sel:DWORD dst_unused:UNUSED_PAD src0_sel:WORD_0 src1_sel:DWORD
	v_or_b32_e32 v12, v15, v13
	v_or_b32_e32 v0, v0, v14
	v_sub_nc_u32_sdwa v6, v6, v3 dst_sel:DWORD dst_unused:UNUSED_PAD src0_sel:WORD_0 src1_sel:DWORD
	v_mul_f32_e32 v7, v9, v7
	v_mul_f32_e32 v11, v9, v11
	v_sub_nc_u32_sdwa v12, v12, v3 dst_sel:DWORD dst_unused:UNUSED_PAD src0_sel:WORD_0 src1_sel:DWORD
	v_sub_nc_u32_sdwa v0, v0, v3 dst_sel:DWORD dst_unused:UNUSED_PAD src0_sel:WORD_0 src1_sel:DWORD
	v_cvt_f32_i32_e32 v3, v10
	v_cvt_f32_i32_e32 v6, v6
	v_mul_f32_e32 v8, v9, v8
	v_mul_f32_e32 v2, v9, v2
	v_cvt_f32_i32_e32 v9, v12
	v_cvt_f32_i32_e32 v10, v0
	v_add_co_u32 v0, vcc_lo, v1, v4
	v_add_co_ci_u32_e64 v1, null, 0, v5, vcc_lo
	v_mul_f32_e32 v3, v7, v3
	v_mul_f32_e32 v4, v11, v6
	;; [unrolled: 1-line block ×4, first 2 shown]
	global_store_dword v[0:1], v3, off
	global_store_dword v[0:1], v4, off offset:256
	global_store_dword v[0:1], v5, off offset:128
	;; [unrolled: 1-line block ×3, first 2 shown]
	s_endpgm
	.section	.rodata,"a",@progbits
	.p2align	6, 0x0
	.amdhsa_kernel _ZL21dequantize_block_q6_KIfEvPKvPT_
		.amdhsa_group_segment_fixed_size 0
		.amdhsa_private_segment_fixed_size 0
		.amdhsa_kernarg_size 16
		.amdhsa_user_sgpr_count 6
		.amdhsa_user_sgpr_private_segment_buffer 1
		.amdhsa_user_sgpr_dispatch_ptr 0
		.amdhsa_user_sgpr_queue_ptr 0
		.amdhsa_user_sgpr_kernarg_segment_ptr 1
		.amdhsa_user_sgpr_dispatch_id 0
		.amdhsa_user_sgpr_flat_scratch_init 0
		.amdhsa_user_sgpr_private_segment_size 0
		.amdhsa_wavefront_size32 1
		.amdhsa_uses_dynamic_stack 0
		.amdhsa_system_sgpr_private_segment_wavefront_offset 0
		.amdhsa_system_sgpr_workgroup_id_x 1
		.amdhsa_system_sgpr_workgroup_id_y 0
		.amdhsa_system_sgpr_workgroup_id_z 0
		.amdhsa_system_sgpr_workgroup_info 0
		.amdhsa_system_vgpr_workitem_id 0
		.amdhsa_next_free_vgpr 16
		.amdhsa_next_free_sgpr 8
		.amdhsa_reserve_vcc 1
		.amdhsa_reserve_flat_scratch 0
		.amdhsa_float_round_mode_32 0
		.amdhsa_float_round_mode_16_64 0
		.amdhsa_float_denorm_mode_32 3
		.amdhsa_float_denorm_mode_16_64 3
		.amdhsa_dx10_clamp 1
		.amdhsa_ieee_mode 1
		.amdhsa_fp16_overflow 0
		.amdhsa_workgroup_processor_mode 1
		.amdhsa_memory_ordered 1
		.amdhsa_forward_progress 1
		.amdhsa_shared_vgpr_count 0
		.amdhsa_exception_fp_ieee_invalid_op 0
		.amdhsa_exception_fp_denorm_src 0
		.amdhsa_exception_fp_ieee_div_zero 0
		.amdhsa_exception_fp_ieee_overflow 0
		.amdhsa_exception_fp_ieee_underflow 0
		.amdhsa_exception_fp_ieee_inexact 0
		.amdhsa_exception_int_div_zero 0
	.end_amdhsa_kernel
	.section	.text._ZL21dequantize_block_q6_KIfEvPKvPT_,"axG",@progbits,_ZL21dequantize_block_q6_KIfEvPKvPT_,comdat
.Lfunc_end26:
	.size	_ZL21dequantize_block_q6_KIfEvPKvPT_, .Lfunc_end26-_ZL21dequantize_block_q6_KIfEvPKvPT_
                                        ; -- End function
	.set _ZL21dequantize_block_q6_KIfEvPKvPT_.num_vgpr, 16
	.set _ZL21dequantize_block_q6_KIfEvPKvPT_.num_agpr, 0
	.set _ZL21dequantize_block_q6_KIfEvPKvPT_.numbered_sgpr, 8
	.set _ZL21dequantize_block_q6_KIfEvPKvPT_.num_named_barrier, 0
	.set _ZL21dequantize_block_q6_KIfEvPKvPT_.private_seg_size, 0
	.set _ZL21dequantize_block_q6_KIfEvPKvPT_.uses_vcc, 1
	.set _ZL21dequantize_block_q6_KIfEvPKvPT_.uses_flat_scratch, 0
	.set _ZL21dequantize_block_q6_KIfEvPKvPT_.has_dyn_sized_stack, 0
	.set _ZL21dequantize_block_q6_KIfEvPKvPT_.has_recursion, 0
	.set _ZL21dequantize_block_q6_KIfEvPKvPT_.has_indirect_call, 0
	.section	.AMDGPU.csdata,"",@progbits
; Kernel info:
; codeLenInByte = 508
; TotalNumSgprs: 10
; NumVgprs: 16
; ScratchSize: 0
; MemoryBound: 0
; FloatMode: 240
; IeeeMode: 1
; LDSByteSize: 0 bytes/workgroup (compile time only)
; SGPRBlocks: 0
; VGPRBlocks: 1
; NumSGPRsForWavesPerEU: 10
; NumVGPRsForWavesPerEU: 16
; Occupancy: 16
; WaveLimiterHint : 0
; COMPUTE_PGM_RSRC2:SCRATCH_EN: 0
; COMPUTE_PGM_RSRC2:USER_SGPR: 6
; COMPUTE_PGM_RSRC2:TRAP_HANDLER: 0
; COMPUTE_PGM_RSRC2:TGID_X_EN: 1
; COMPUTE_PGM_RSRC2:TGID_Y_EN: 0
; COMPUTE_PGM_RSRC2:TGID_Z_EN: 0
; COMPUTE_PGM_RSRC2:TIDIG_COMP_CNT: 0
	.section	.text._ZL24dequantize_block_iq2_xxsIfEvPKvPT_,"axG",@progbits,_ZL24dequantize_block_iq2_xxsIfEvPKvPT_,comdat
	.globl	_ZL24dequantize_block_iq2_xxsIfEvPKvPT_ ; -- Begin function _ZL24dequantize_block_iq2_xxsIfEvPKvPT_
	.p2align	8
	.type	_ZL24dequantize_block_iq2_xxsIfEvPKvPT_,@function
_ZL24dequantize_block_iq2_xxsIfEvPKvPT_: ; @_ZL24dequantize_block_iq2_xxsIfEvPKvPT_
; %bb.0:
	s_load_dwordx4 s[0:3], s[4:5], 0x0
	v_and_b32_e32 v3, 7, v0
	s_mov_b32 s7, 0
	v_lshrrev_b32_e32 v4, 3, v0
	s_lshl_b64 s[4:5], s[6:7], 10
	s_mul_hi_u32 s7, s6, 0x42
	v_lshlrev_b32_e32 v5, 3, v3
	s_mulk_i32 s6, 0x42
	v_mov_b32_e32 v6, 0
	v_and_b32_e32 v0, 0x3f8, v0
	v_lshlrev_b32_e32 v3, 7, v3
	v_lshlrev_b32_e32 v0, 2, v0
	s_waitcnt lgkmcnt(0)
	s_add_u32 s4, s2, s4
	s_addc_u32 s5, s3, s5
	s_add_u32 s0, s0, s6
	s_addc_u32 s1, s1, s7
	v_add_co_u32 v1, s2, s0, v5
	v_add_co_ci_u32_e64 v2, null, s1, 0, s2
	v_add_co_u32 v1, vcc_lo, v1, v4
	v_add_co_ci_u32_e64 v2, null, 0, v2, vcc_lo
	s_clause 0x2
	global_load_ubyte v1, v[1:2], off offset:2
	global_load_ushort v6, v6, s[0:1]
	global_load_dword v5, v5, s[0:1] offset:6
	v_mul_u32_u24_e32 v2, 7, v4
	s_getpc_b64 s[0:1]
	s_add_u32 s0, s0, _ZL11iq2xxs_grid@rel32@lo+4
	s_addc_u32 s1, s1, _ZL11iq2xxs_grid@rel32@hi+12
	s_getpc_b64 s[2:3]
	s_add_u32 s2, s2, _ZL12ksigns_iq2xs@rel32@lo+4
	s_addc_u32 s3, s3, _ZL12ksigns_iq2xs@rel32@hi+12
	s_waitcnt vmcnt(2)
	v_lshlrev_b32_e32 v1, 3, v1
	s_waitcnt vmcnt(0)
	v_bfe_u32 v7, v5, v2, 7
	v_lshrrev_b32_e32 v4, 28, v5
	v_cvt_f32_f16_e32 v5, v6
	global_load_dwordx2 v[1:2], v1, s[0:1]
	global_load_sbyte v10, v7, s[2:3]
	v_add_co_u32 v3, s0, s4, v3
	v_cvt_f32_ubyte0_e32 v4, v4
	v_add_co_ci_u32_e64 v6, null, s5, 0, s0
	v_add_co_u32 v8, vcc_lo, v3, v0
	v_add_f32_e32 v4, 0.5, v4
	v_add_co_ci_u32_e64 v9, null, 0, v6, vcc_lo
	v_mul_f32_e32 v4, v4, v5
	v_mul_f32_e32 v0, 0x3e800000, v4
	s_waitcnt vmcnt(1)
	v_cvt_f32_ubyte0_e32 v3, v1
	s_waitcnt vmcnt(0)
	v_and_b32_e32 v4, 1, v10
	v_cvt_f32_ubyte1_e32 v5, v1
	v_and_b32_e32 v6, 2, v10
	v_cvt_f32_ubyte2_e32 v11, v1
	v_cvt_f32_ubyte3_e32 v1, v1
	v_cvt_f32_ubyte0_e32 v14, v2
	v_cvt_f32_ubyte1_e32 v16, v2
	v_cvt_f32_ubyte2_e32 v18, v2
	v_cvt_f32_ubyte3_e32 v2, v2
	v_mul_f32_e32 v3, v0, v3
	v_cmp_eq_u16_e32 vcc_lo, 0, v4
	v_and_b32_e32 v12, 4, v10
	v_mul_f32_e32 v5, v0, v5
	v_mul_f32_e32 v11, v0, v11
	;; [unrolled: 1-line block ×7, first 2 shown]
	v_cndmask_b32_e64 v0, -v3, v3, vcc_lo
	v_cmp_eq_u16_e32 vcc_lo, 0, v6
	v_and_b32_e32 v13, 8, v10
	v_and_b32_e32 v15, 16, v10
	;; [unrolled: 1-line block ×3, first 2 shown]
	v_cndmask_b32_e64 v1, -v5, v5, vcc_lo
	v_cmp_eq_u16_e32 vcc_lo, 0, v12
	v_cndmask_b32_e64 v2, -v11, v11, vcc_lo
	v_cmp_eq_u16_e32 vcc_lo, 0, v13
	;; [unrolled: 2-line block ×4, first 2 shown]
	v_cndmask_b32_e64 v5, -v16, v16, vcc_lo
	v_cmp_gt_u32_e32 vcc_lo, 64, v7
	v_cndmask_b32_e64 v6, -v18, v18, vcc_lo
	v_cmp_gt_i16_e32 vcc_lo, 0, v10
	v_cndmask_b32_e64 v7, v20, -v20, vcc_lo
	global_store_dwordx4 v[8:9], v[0:3], off
	global_store_dwordx4 v[8:9], v[4:7], off offset:16
	s_endpgm
	.section	.rodata,"a",@progbits
	.p2align	6, 0x0
	.amdhsa_kernel _ZL24dequantize_block_iq2_xxsIfEvPKvPT_
		.amdhsa_group_segment_fixed_size 0
		.amdhsa_private_segment_fixed_size 0
		.amdhsa_kernarg_size 16
		.amdhsa_user_sgpr_count 6
		.amdhsa_user_sgpr_private_segment_buffer 1
		.amdhsa_user_sgpr_dispatch_ptr 0
		.amdhsa_user_sgpr_queue_ptr 0
		.amdhsa_user_sgpr_kernarg_segment_ptr 1
		.amdhsa_user_sgpr_dispatch_id 0
		.amdhsa_user_sgpr_flat_scratch_init 0
		.amdhsa_user_sgpr_private_segment_size 0
		.amdhsa_wavefront_size32 1
		.amdhsa_uses_dynamic_stack 0
		.amdhsa_system_sgpr_private_segment_wavefront_offset 0
		.amdhsa_system_sgpr_workgroup_id_x 1
		.amdhsa_system_sgpr_workgroup_id_y 0
		.amdhsa_system_sgpr_workgroup_id_z 0
		.amdhsa_system_sgpr_workgroup_info 0
		.amdhsa_system_vgpr_workitem_id 0
		.amdhsa_next_free_vgpr 21
		.amdhsa_next_free_sgpr 8
		.amdhsa_reserve_vcc 1
		.amdhsa_reserve_flat_scratch 0
		.amdhsa_float_round_mode_32 0
		.amdhsa_float_round_mode_16_64 0
		.amdhsa_float_denorm_mode_32 3
		.amdhsa_float_denorm_mode_16_64 3
		.amdhsa_dx10_clamp 1
		.amdhsa_ieee_mode 1
		.amdhsa_fp16_overflow 0
		.amdhsa_workgroup_processor_mode 1
		.amdhsa_memory_ordered 1
		.amdhsa_forward_progress 1
		.amdhsa_shared_vgpr_count 0
		.amdhsa_exception_fp_ieee_invalid_op 0
		.amdhsa_exception_fp_denorm_src 0
		.amdhsa_exception_fp_ieee_div_zero 0
		.amdhsa_exception_fp_ieee_overflow 0
		.amdhsa_exception_fp_ieee_underflow 0
		.amdhsa_exception_fp_ieee_inexact 0
		.amdhsa_exception_int_div_zero 0
	.end_amdhsa_kernel
	.section	.text._ZL24dequantize_block_iq2_xxsIfEvPKvPT_,"axG",@progbits,_ZL24dequantize_block_iq2_xxsIfEvPKvPT_,comdat
.Lfunc_end27:
	.size	_ZL24dequantize_block_iq2_xxsIfEvPKvPT_, .Lfunc_end27-_ZL24dequantize_block_iq2_xxsIfEvPKvPT_
                                        ; -- End function
	.set _ZL24dequantize_block_iq2_xxsIfEvPKvPT_.num_vgpr, 21
	.set _ZL24dequantize_block_iq2_xxsIfEvPKvPT_.num_agpr, 0
	.set _ZL24dequantize_block_iq2_xxsIfEvPKvPT_.numbered_sgpr, 8
	.set _ZL24dequantize_block_iq2_xxsIfEvPKvPT_.num_named_barrier, 0
	.set _ZL24dequantize_block_iq2_xxsIfEvPKvPT_.private_seg_size, 0
	.set _ZL24dequantize_block_iq2_xxsIfEvPKvPT_.uses_vcc, 1
	.set _ZL24dequantize_block_iq2_xxsIfEvPKvPT_.uses_flat_scratch, 0
	.set _ZL24dequantize_block_iq2_xxsIfEvPKvPT_.has_dyn_sized_stack, 0
	.set _ZL24dequantize_block_iq2_xxsIfEvPKvPT_.has_recursion, 0
	.set _ZL24dequantize_block_iq2_xxsIfEvPKvPT_.has_indirect_call, 0
	.section	.AMDGPU.csdata,"",@progbits
; Kernel info:
; codeLenInByte = 492
; TotalNumSgprs: 10
; NumVgprs: 21
; ScratchSize: 0
; MemoryBound: 0
; FloatMode: 240
; IeeeMode: 1
; LDSByteSize: 0 bytes/workgroup (compile time only)
; SGPRBlocks: 0
; VGPRBlocks: 2
; NumSGPRsForWavesPerEU: 10
; NumVGPRsForWavesPerEU: 21
; Occupancy: 16
; WaveLimiterHint : 0
; COMPUTE_PGM_RSRC2:SCRATCH_EN: 0
; COMPUTE_PGM_RSRC2:USER_SGPR: 6
; COMPUTE_PGM_RSRC2:TRAP_HANDLER: 0
; COMPUTE_PGM_RSRC2:TGID_X_EN: 1
; COMPUTE_PGM_RSRC2:TGID_Y_EN: 0
; COMPUTE_PGM_RSRC2:TGID_Z_EN: 0
; COMPUTE_PGM_RSRC2:TIDIG_COMP_CNT: 0
	.section	.text._ZL23dequantize_block_iq2_xsIfEvPKvPT_,"axG",@progbits,_ZL23dequantize_block_iq2_xsIfEvPKvPT_,comdat
	.globl	_ZL23dequantize_block_iq2_xsIfEvPKvPT_ ; -- Begin function _ZL23dequantize_block_iq2_xsIfEvPKvPT_
	.p2align	8
	.type	_ZL23dequantize_block_iq2_xsIfEvPKvPT_,@function
_ZL23dequantize_block_iq2_xsIfEvPKvPT_: ; @_ZL23dequantize_block_iq2_xsIfEvPKvPT_
; %bb.0:
	s_load_dwordx4 s[0:3], s[4:5], 0x0
	v_and_b32_e32 v5, 7, v0
	s_mov_b32 s7, 0
	v_lshrrev_b32_e32 v6, 2, v0
	s_lshl_b64 s[4:5], s[6:7], 10
	s_mul_hi_u32 s7, s6, 0x4a
	v_lshlrev_b32_e32 v1, 3, v5
	s_mulk_i32 s6, 0x4a
	v_and_b32_e32 v2, 0xfe, v6
	v_and_b32_e32 v0, 0x3f8, v0
	v_lshlrev_b32_e32 v0, 2, v0
	s_waitcnt lgkmcnt(0)
	s_add_u32 s4, s2, s4
	s_addc_u32 s5, s3, s5
	s_add_u32 s0, s0, s6
	s_addc_u32 s1, s1, s7
	v_add_co_u32 v1, s2, s0, v1
	v_add_co_ci_u32_e64 v3, null, s1, 0, s2
	v_add_co_u32 v1, vcc_lo, v1, v2
	v_add_co_ci_u32_e64 v2, null, 0, v3, vcc_lo
	global_load_ushort v7, v[1:2], off offset:2
	v_mov_b32_e32 v1, 0
	s_clause 0x1
	global_load_ushort v8, v1, s[0:1]
	global_load_ubyte v9, v5, s[0:1] offset:66
	v_mov_b32_e32 v1, 3
	s_getpc_b64 s[0:1]
	s_add_u32 s0, s0, _ZL10iq2xs_grid@rel32@lo+4
	s_addc_u32 s1, s1, _ZL10iq2xs_grid@rel32@hi+12
	s_getpc_b64 s[2:3]
	s_add_u32 s2, s2, _ZL12ksigns_iq2xs@rel32@lo+4
	s_addc_u32 s3, s3, _ZL12ksigns_iq2xs@rel32@hi+12
	s_waitcnt vmcnt(2)
	v_and_b32_e32 v2, 0x1ff, v7
	v_lshrrev_b16 v3, 9, v7
	v_lshlrev_b32_sdwa v1, v1, v2 dst_sel:DWORD dst_unused:UNUSED_PAD src0_sel:DWORD src1_sel:WORD_0
	v_and_b32_e32 v3, 0xffff, v3
	global_load_dwordx2 v[1:2], v1, s[0:1]
	v_add_co_u32 v3, s0, s2, v3
	v_add_co_ci_u32_e64 v4, null, s3, 0, s0
	global_load_sbyte v10, v[3:4], off
	v_and_b32_e32 v3, 0xfc, v6
	v_lshlrev_b32_e32 v4, 7, v5
	s_waitcnt vmcnt(3)
	v_cvt_f32_f16_e32 v5, v8
	s_waitcnt vmcnt(2)
	v_bfe_u32 v3, v9, v3, 4
	v_add_co_u32 v4, s0, s4, v4
	v_add_co_ci_u32_e64 v6, null, s5, 0, s0
	v_cvt_f32_ubyte0_e32 v3, v3
	v_add_co_u32 v8, vcc_lo, v4, v0
	v_add_co_ci_u32_e64 v9, null, 0, v6, vcc_lo
	v_add_f32_e32 v3, 0.5, v3
	v_mul_f32_e32 v3, v3, v5
	v_mul_f32_e32 v0, 0x3e800000, v3
	s_waitcnt vmcnt(1)
	v_cvt_f32_ubyte0_e32 v3, v1
	v_cvt_f32_ubyte1_e32 v4, v1
	v_cvt_f32_ubyte2_e32 v5, v1
	v_cvt_f32_ubyte3_e32 v1, v1
	v_cvt_f32_ubyte0_e32 v6, v2
	v_cvt_f32_ubyte1_e32 v11, v2
	v_cvt_f32_ubyte2_e32 v12, v2
	v_cvt_f32_ubyte3_e32 v2, v2
	s_waitcnt vmcnt(0)
	v_and_b32_e32 v13, 1, v10
	v_mul_f32_e32 v3, v0, v3
	v_and_b32_e32 v14, 2, v10
	v_mul_f32_e32 v4, v0, v4
	v_mul_f32_e32 v5, v0, v5
	v_cmp_eq_u16_e32 vcc_lo, 0, v13
	v_and_b32_e32 v15, 4, v10
	v_mul_f32_e32 v16, v0, v1
	v_mul_f32_e32 v6, v0, v6
	;; [unrolled: 1-line block ×5, first 2 shown]
	v_cndmask_b32_e64 v0, -v3, v3, vcc_lo
	v_cmp_eq_u16_e32 vcc_lo, 0, v14
	v_and_b32_e32 v17, 8, v10
	v_and_b32_e32 v18, 16, v10
	v_and_b32_e32 v19, 32, v10
	v_cndmask_b32_e64 v1, -v4, v4, vcc_lo
	v_cmp_eq_u16_e32 vcc_lo, 0, v15
	v_cndmask_b32_e64 v2, -v5, v5, vcc_lo
	v_cmp_eq_u16_e32 vcc_lo, 0, v17
	;; [unrolled: 2-line block ×4, first 2 shown]
	v_cndmask_b32_e64 v5, -v11, v11, vcc_lo
	v_cmp_gt_i16_e32 vcc_lo, 0, v7
	v_cndmask_b32_e64 v6, v12, -v12, vcc_lo
	v_cmp_gt_i16_e32 vcc_lo, 0, v10
	v_cndmask_b32_e64 v7, v20, -v20, vcc_lo
	global_store_dwordx4 v[8:9], v[0:3], off
	global_store_dwordx4 v[8:9], v[4:7], off offset:16
	s_endpgm
	.section	.rodata,"a",@progbits
	.p2align	6, 0x0
	.amdhsa_kernel _ZL23dequantize_block_iq2_xsIfEvPKvPT_
		.amdhsa_group_segment_fixed_size 0
		.amdhsa_private_segment_fixed_size 0
		.amdhsa_kernarg_size 16
		.amdhsa_user_sgpr_count 6
		.amdhsa_user_sgpr_private_segment_buffer 1
		.amdhsa_user_sgpr_dispatch_ptr 0
		.amdhsa_user_sgpr_queue_ptr 0
		.amdhsa_user_sgpr_kernarg_segment_ptr 1
		.amdhsa_user_sgpr_dispatch_id 0
		.amdhsa_user_sgpr_flat_scratch_init 0
		.amdhsa_user_sgpr_private_segment_size 0
		.amdhsa_wavefront_size32 1
		.amdhsa_uses_dynamic_stack 0
		.amdhsa_system_sgpr_private_segment_wavefront_offset 0
		.amdhsa_system_sgpr_workgroup_id_x 1
		.amdhsa_system_sgpr_workgroup_id_y 0
		.amdhsa_system_sgpr_workgroup_id_z 0
		.amdhsa_system_sgpr_workgroup_info 0
		.amdhsa_system_vgpr_workitem_id 0
		.amdhsa_next_free_vgpr 21
		.amdhsa_next_free_sgpr 8
		.amdhsa_reserve_vcc 1
		.amdhsa_reserve_flat_scratch 0
		.amdhsa_float_round_mode_32 0
		.amdhsa_float_round_mode_16_64 0
		.amdhsa_float_denorm_mode_32 3
		.amdhsa_float_denorm_mode_16_64 3
		.amdhsa_dx10_clamp 1
		.amdhsa_ieee_mode 1
		.amdhsa_fp16_overflow 0
		.amdhsa_workgroup_processor_mode 1
		.amdhsa_memory_ordered 1
		.amdhsa_forward_progress 1
		.amdhsa_shared_vgpr_count 0
		.amdhsa_exception_fp_ieee_invalid_op 0
		.amdhsa_exception_fp_denorm_src 0
		.amdhsa_exception_fp_ieee_div_zero 0
		.amdhsa_exception_fp_ieee_overflow 0
		.amdhsa_exception_fp_ieee_underflow 0
		.amdhsa_exception_fp_ieee_inexact 0
		.amdhsa_exception_int_div_zero 0
	.end_amdhsa_kernel
	.section	.text._ZL23dequantize_block_iq2_xsIfEvPKvPT_,"axG",@progbits,_ZL23dequantize_block_iq2_xsIfEvPKvPT_,comdat
.Lfunc_end28:
	.size	_ZL23dequantize_block_iq2_xsIfEvPKvPT_, .Lfunc_end28-_ZL23dequantize_block_iq2_xsIfEvPKvPT_
                                        ; -- End function
	.set _ZL23dequantize_block_iq2_xsIfEvPKvPT_.num_vgpr, 21
	.set _ZL23dequantize_block_iq2_xsIfEvPKvPT_.num_agpr, 0
	.set _ZL23dequantize_block_iq2_xsIfEvPKvPT_.numbered_sgpr, 8
	.set _ZL23dequantize_block_iq2_xsIfEvPKvPT_.num_named_barrier, 0
	.set _ZL23dequantize_block_iq2_xsIfEvPKvPT_.private_seg_size, 0
	.set _ZL23dequantize_block_iq2_xsIfEvPKvPT_.uses_vcc, 1
	.set _ZL23dequantize_block_iq2_xsIfEvPKvPT_.uses_flat_scratch, 0
	.set _ZL23dequantize_block_iq2_xsIfEvPKvPT_.has_dyn_sized_stack, 0
	.set _ZL23dequantize_block_iq2_xsIfEvPKvPT_.has_recursion, 0
	.set _ZL23dequantize_block_iq2_xsIfEvPKvPT_.has_indirect_call, 0
	.section	.AMDGPU.csdata,"",@progbits
; Kernel info:
; codeLenInByte = 552
; TotalNumSgprs: 10
; NumVgprs: 21
; ScratchSize: 0
; MemoryBound: 0
; FloatMode: 240
; IeeeMode: 1
; LDSByteSize: 0 bytes/workgroup (compile time only)
; SGPRBlocks: 0
; VGPRBlocks: 2
; NumSGPRsForWavesPerEU: 10
; NumVGPRsForWavesPerEU: 21
; Occupancy: 16
; WaveLimiterHint : 0
; COMPUTE_PGM_RSRC2:SCRATCH_EN: 0
; COMPUTE_PGM_RSRC2:USER_SGPR: 6
; COMPUTE_PGM_RSRC2:TRAP_HANDLER: 0
; COMPUTE_PGM_RSRC2:TGID_X_EN: 1
; COMPUTE_PGM_RSRC2:TGID_Y_EN: 0
; COMPUTE_PGM_RSRC2:TGID_Z_EN: 0
; COMPUTE_PGM_RSRC2:TIDIG_COMP_CNT: 0
	.section	.text._ZL22dequantize_block_iq2_sIfEvPKvPT_,"axG",@progbits,_ZL22dequantize_block_iq2_sIfEvPKvPT_,comdat
	.globl	_ZL22dequantize_block_iq2_sIfEvPKvPT_ ; -- Begin function _ZL22dequantize_block_iq2_sIfEvPKvPT_
	.p2align	8
	.type	_ZL22dequantize_block_iq2_sIfEvPKvPT_,@function
_ZL22dequantize_block_iq2_sIfEvPKvPT_:  ; @_ZL22dequantize_block_iq2_sIfEvPKvPT_
; %bb.0:
	s_load_dwordx4 s[0:3], s[4:5], 0x0
	v_and_b32_e32 v3, 7, v0
	s_mov_b32 s7, 0
	v_lshrrev_b32_e32 v4, 3, v0
	s_lshl_b64 s[4:5], s[6:7], 10
	s_mul_hi_u32 s7, s6, 0x52
	v_lshlrev_b32_e32 v1, 2, v3
	s_mulk_i32 s6, 0x52
	s_waitcnt lgkmcnt(0)
	s_add_u32 s2, s2, s4
	s_addc_u32 s3, s3, s5
	s_add_u32 s0, s0, s6
	s_addc_u32 s1, s1, s7
	v_add_co_u32 v1, s4, s0, v1
	v_add_co_ci_u32_e64 v2, null, s1, 0, s4
	v_add_co_u32 v1, vcc_lo, v1, v4
	v_add_co_ci_u32_e64 v2, null, 0, v2, vcc_lo
	v_lshlrev_b32_e32 v4, 1, v4
	s_clause 0x3
	global_load_ubyte v5, v3, s[0:1] offset:66
	global_load_ubyte v6, v[1:2], off offset:2
	global_load_sbyte v7, v[1:2], off offset:34
	global_load_ubyte v8, v3, s[0:1] offset:74
	v_mov_b32_e32 v1, 0
	v_sub_nc_u32_e32 v2, 8, v4
	v_lshlrev_b32_e32 v3, 7, v3
	global_load_ushort v4, v1, s[0:1]
	s_getpc_b64 s[0:1]
	s_add_u32 s0, s0, _ZL9iq2s_grid@rel32@lo+4
	s_addc_u32 s1, s1, _ZL9iq2s_grid@rel32@hi+12
	s_waitcnt vmcnt(4)
	v_lshlrev_b32_e32 v1, v2, v5
	v_lshrrev_b32_e32 v5, 2, v0
	v_and_b32_e32 v0, 0x3f8, v0
	s_waitcnt vmcnt(2)
	v_and_b32_e32 v10, 16, v7
	v_and_b32_e32 v11, 32, v7
	v_and_or_b32 v1, 0x300, v1, v6
	v_and_b32_e32 v5, 0xfc, v5
	v_lshlrev_b32_e32 v0, 2, v0
	s_waitcnt vmcnt(0)
	v_cvt_f32_f16_e32 v4, v4
	v_and_b32_e32 v12, 64, v7
	v_lshlrev_b32_e32 v1, 3, v1
	v_bfe_u32 v5, v8, v5, 4
	global_load_dwordx2 v[1:2], v1, s[0:1]
	v_cvt_f32_ubyte0_e32 v5, v5
	v_add_co_u32 v3, s0, s2, v3
	v_add_co_ci_u32_e64 v6, null, s3, 0, s0
	v_add_f32_e32 v5, 0.5, v5
	v_add_co_u32 v8, vcc_lo, v3, v0
	v_and_b32_e32 v0, 1, v7
	v_add_co_ci_u32_e64 v9, null, 0, v6, vcc_lo
	v_mul_f32_e32 v4, v5, v4
	v_and_b32_e32 v3, 2, v7
	v_cmp_eq_u16_e32 vcc_lo, 0, v0
	v_and_b32_e32 v6, 4, v7
	v_and_b32_e32 v5, 8, v7
	v_mul_f32_e32 v4, 0x3e800000, v4
	s_waitcnt vmcnt(0)
	v_cvt_f32_ubyte0_e32 v13, v1
	v_cvt_f32_ubyte1_e32 v14, v1
	v_cvt_f32_ubyte2_e32 v15, v1
	v_cvt_f32_ubyte3_e32 v1, v1
	v_cvt_f32_ubyte0_e32 v16, v2
	v_mul_f32_e32 v13, v4, v13
	v_mul_f32_e32 v14, v4, v14
	v_cvt_f32_ubyte1_e32 v17, v2
	v_cvt_f32_ubyte2_e32 v18, v2
	v_cvt_f32_ubyte3_e32 v2, v2
	v_cndmask_b32_e64 v0, -v13, v13, vcc_lo
	v_cmp_eq_u16_e32 vcc_lo, 0, v3
	v_mul_f32_e32 v15, v4, v15
	v_mul_f32_e32 v19, v4, v1
	;; [unrolled: 1-line block ×4, first 2 shown]
	v_cndmask_b32_e64 v1, -v14, v14, vcc_lo
	v_cmp_eq_u16_e32 vcc_lo, 0, v6
	v_mul_f32_e32 v17, v4, v17
	v_mul_f32_e32 v18, v4, v18
	v_cndmask_b32_e64 v2, -v15, v15, vcc_lo
	v_cmp_eq_u16_e32 vcc_lo, 0, v5
	v_cndmask_b32_e64 v3, -v19, v19, vcc_lo
	v_cmp_eq_u16_e32 vcc_lo, 0, v10
	;; [unrolled: 2-line block ×4, first 2 shown]
	v_cndmask_b32_e64 v6, -v18, v18, vcc_lo
	v_cmp_gt_i16_e32 vcc_lo, 0, v7
	v_cndmask_b32_e64 v7, v20, -v20, vcc_lo
	global_store_dwordx4 v[8:9], v[0:3], off
	global_store_dwordx4 v[8:9], v[4:7], off offset:16
	s_endpgm
	.section	.rodata,"a",@progbits
	.p2align	6, 0x0
	.amdhsa_kernel _ZL22dequantize_block_iq2_sIfEvPKvPT_
		.amdhsa_group_segment_fixed_size 0
		.amdhsa_private_segment_fixed_size 0
		.amdhsa_kernarg_size 16
		.amdhsa_user_sgpr_count 6
		.amdhsa_user_sgpr_private_segment_buffer 1
		.amdhsa_user_sgpr_dispatch_ptr 0
		.amdhsa_user_sgpr_queue_ptr 0
		.amdhsa_user_sgpr_kernarg_segment_ptr 1
		.amdhsa_user_sgpr_dispatch_id 0
		.amdhsa_user_sgpr_flat_scratch_init 0
		.amdhsa_user_sgpr_private_segment_size 0
		.amdhsa_wavefront_size32 1
		.amdhsa_uses_dynamic_stack 0
		.amdhsa_system_sgpr_private_segment_wavefront_offset 0
		.amdhsa_system_sgpr_workgroup_id_x 1
		.amdhsa_system_sgpr_workgroup_id_y 0
		.amdhsa_system_sgpr_workgroup_id_z 0
		.amdhsa_system_sgpr_workgroup_info 0
		.amdhsa_system_vgpr_workitem_id 0
		.amdhsa_next_free_vgpr 21
		.amdhsa_next_free_sgpr 8
		.amdhsa_reserve_vcc 1
		.amdhsa_reserve_flat_scratch 0
		.amdhsa_float_round_mode_32 0
		.amdhsa_float_round_mode_16_64 0
		.amdhsa_float_denorm_mode_32 3
		.amdhsa_float_denorm_mode_16_64 3
		.amdhsa_dx10_clamp 1
		.amdhsa_ieee_mode 1
		.amdhsa_fp16_overflow 0
		.amdhsa_workgroup_processor_mode 1
		.amdhsa_memory_ordered 1
		.amdhsa_forward_progress 1
		.amdhsa_shared_vgpr_count 0
		.amdhsa_exception_fp_ieee_invalid_op 0
		.amdhsa_exception_fp_denorm_src 0
		.amdhsa_exception_fp_ieee_div_zero 0
		.amdhsa_exception_fp_ieee_overflow 0
		.amdhsa_exception_fp_ieee_underflow 0
		.amdhsa_exception_fp_ieee_inexact 0
		.amdhsa_exception_int_div_zero 0
	.end_amdhsa_kernel
	.section	.text._ZL22dequantize_block_iq2_sIfEvPKvPT_,"axG",@progbits,_ZL22dequantize_block_iq2_sIfEvPKvPT_,comdat
.Lfunc_end29:
	.size	_ZL22dequantize_block_iq2_sIfEvPKvPT_, .Lfunc_end29-_ZL22dequantize_block_iq2_sIfEvPKvPT_
                                        ; -- End function
	.set _ZL22dequantize_block_iq2_sIfEvPKvPT_.num_vgpr, 21
	.set _ZL22dequantize_block_iq2_sIfEvPKvPT_.num_agpr, 0
	.set _ZL22dequantize_block_iq2_sIfEvPKvPT_.numbered_sgpr, 8
	.set _ZL22dequantize_block_iq2_sIfEvPKvPT_.num_named_barrier, 0
	.set _ZL22dequantize_block_iq2_sIfEvPKvPT_.private_seg_size, 0
	.set _ZL22dequantize_block_iq2_sIfEvPKvPT_.uses_vcc, 1
	.set _ZL22dequantize_block_iq2_sIfEvPKvPT_.uses_flat_scratch, 0
	.set _ZL22dequantize_block_iq2_sIfEvPKvPT_.has_dyn_sized_stack, 0
	.set _ZL22dequantize_block_iq2_sIfEvPKvPT_.has_recursion, 0
	.set _ZL22dequantize_block_iq2_sIfEvPKvPT_.has_indirect_call, 0
	.section	.AMDGPU.csdata,"",@progbits
; Kernel info:
; codeLenInByte = 512
; TotalNumSgprs: 10
; NumVgprs: 21
; ScratchSize: 0
; MemoryBound: 0
; FloatMode: 240
; IeeeMode: 1
; LDSByteSize: 0 bytes/workgroup (compile time only)
; SGPRBlocks: 0
; VGPRBlocks: 2
; NumSGPRsForWavesPerEU: 10
; NumVGPRsForWavesPerEU: 21
; Occupancy: 16
; WaveLimiterHint : 0
; COMPUTE_PGM_RSRC2:SCRATCH_EN: 0
; COMPUTE_PGM_RSRC2:USER_SGPR: 6
; COMPUTE_PGM_RSRC2:TRAP_HANDLER: 0
; COMPUTE_PGM_RSRC2:TGID_X_EN: 1
; COMPUTE_PGM_RSRC2:TGID_Y_EN: 0
; COMPUTE_PGM_RSRC2:TGID_Z_EN: 0
; COMPUTE_PGM_RSRC2:TIDIG_COMP_CNT: 0
	.section	.text._ZL24dequantize_block_iq3_xxsIfEvPKvPT_,"axG",@progbits,_ZL24dequantize_block_iq3_xxsIfEvPKvPT_,comdat
	.globl	_ZL24dequantize_block_iq3_xxsIfEvPKvPT_ ; -- Begin function _ZL24dequantize_block_iq3_xxsIfEvPKvPT_
	.p2align	8
	.type	_ZL24dequantize_block_iq3_xxsIfEvPKvPT_,@function
_ZL24dequantize_block_iq3_xxsIfEvPKvPT_: ; @_ZL24dequantize_block_iq3_xxsIfEvPKvPT_
; %bb.0:
	s_load_dwordx4 s[0:3], s[4:5], 0x0
	v_and_b32_e32 v6, 7, v0
	s_mov_b32 s7, 0
	v_lshrrev_b32_e32 v7, 3, v0
	s_lshl_b64 s[4:5], s[6:7], 10
	s_mul_hi_u32 s7, s6, 0x62
	v_lshlrev_b32_e32 v1, 3, v6
	s_mulk_i32 s6, 0x62
	v_lshlrev_b32_e32 v2, 2, v6
	v_lshlrev_b32_e32 v3, 1, v7
	v_mov_b32_e32 v5, 0
	v_and_b32_e32 v0, 0x3f8, v0
	v_lshlrev_b32_e32 v0, 2, v0
	s_waitcnt lgkmcnt(0)
	s_add_u32 s4, s2, s4
	s_addc_u32 s5, s3, s5
	s_add_u32 s0, s0, s6
	s_addc_u32 s1, s1, s7
	v_add_co_u32 v4, s2, s0, v1
	v_add_co_ci_u32_e64 v8, null, s1, 0, s2
	v_sub_co_u32 v9, s2, 0, v2
	v_sub_co_ci_u32_e64 v10, null, 0, 0, s2
	v_add_co_u32 v1, vcc_lo, v4, v3
	v_add_co_ci_u32_e64 v2, null, 0, v8, vcc_lo
	v_add_co_u32 v3, vcc_lo, v4, v9
	v_add_co_ci_u32_e64 v4, null, v8, v10, vcc_lo
	s_clause 0x2
	global_load_ushort v1, v[1:2], off offset:2
	global_load_ushort v2, v5, s[0:1]
	global_load_dword v3, v[3:4], off offset:66
	v_mov_b32_e32 v4, 2
	v_mul_u32_u24_e32 v5, 7, v7
	v_mov_b32_e32 v7, 0xffff
	s_getpc_b64 s[0:1]
	s_add_u32 s0, s0, _ZL11iq3xxs_grid@rel32@lo+4
	s_addc_u32 s1, s1, _ZL11iq3xxs_grid@rel32@hi+12
	s_getpc_b64 s[2:3]
	s_add_u32 s2, s2, _ZL12ksigns_iq2xs@rel32@lo+4
	s_addc_u32 s3, s3, _ZL12ksigns_iq2xs@rel32@hi+12
	s_waitcnt vmcnt(2)
	v_lshlrev_b32_sdwa v4, v4, v1 dst_sel:DWORD dst_unused:UNUSED_PAD src0_sel:DWORD src1_sel:BYTE_0
	v_and_b32_sdwa v1, v7, v1 dst_sel:DWORD dst_unused:UNUSED_PAD src0_sel:DWORD src1_sel:BYTE_1
	s_waitcnt vmcnt(0)
	v_bfe_u32 v10, v3, v5, 7
	global_load_dword v4, v4, s[0:1]
	global_load_sbyte v7, v10, s[2:3]
	v_lshlrev_b32_e32 v1, 2, v1
	v_lshrrev_b32_e32 v3, 28, v3
	v_lshlrev_b32_e32 v5, 7, v6
	v_cvt_f32_f16_e32 v2, v2
	global_load_dword v1, v1, s[0:1]
	v_cvt_f32_ubyte0_e32 v3, v3
	v_add_co_u32 v5, s0, s4, v5
	v_add_co_ci_u32_e64 v6, null, s5, 0, s0
	v_add_f32_e32 v3, 0.5, v3
	v_add_co_u32 v8, vcc_lo, v5, v0
	v_add_co_ci_u32_e64 v9, null, 0, v6, vcc_lo
	v_mul_f32_e32 v2, v3, v2
	v_mul_f32_e32 v5, 0.5, v2
	s_waitcnt vmcnt(2)
	v_cvt_f32_ubyte0_e32 v0, v4
	s_waitcnt vmcnt(1)
	v_and_b32_e32 v2, 1, v7
	v_cvt_f32_ubyte1_e32 v3, v4
	v_and_b32_e32 v11, 2, v7
	v_cvt_f32_ubyte2_e32 v13, v4
	v_mul_f32_e32 v0, v5, v0
	v_cmp_eq_u16_e32 vcc_lo, 0, v2
	v_and_b32_e32 v14, 4, v7
	v_mul_f32_e32 v3, v5, v3
	v_cvt_f32_ubyte3_e32 v4, v4
	v_and_b32_e32 v15, 8, v7
	v_cndmask_b32_e64 v0, -v0, v0, vcc_lo
	v_cmp_eq_u16_e32 vcc_lo, 0, v11
	s_waitcnt vmcnt(0)
	v_cvt_f32_ubyte0_e32 v16, v1
	v_cvt_f32_ubyte1_e32 v17, v1
	v_mul_f32_e32 v13, v5, v13
	v_cvt_f32_ubyte2_e32 v18, v1
	v_cvt_f32_ubyte3_e32 v19, v1
	v_cndmask_b32_e64 v1, -v3, v3, vcc_lo
	v_cmp_eq_u16_e32 vcc_lo, 0, v14
	v_and_b32_e32 v6, 16, v7
	v_mul_f32_e32 v4, v5, v4
	v_and_b32_e32 v12, 32, v7
	v_mul_f32_e32 v16, v5, v16
	v_cndmask_b32_e64 v2, -v13, v13, vcc_lo
	v_cmp_eq_u16_e32 vcc_lo, 0, v15
	v_mul_f32_e32 v11, v5, v17
	v_mul_f32_e32 v13, v5, v18
	;; [unrolled: 1-line block ×3, first 2 shown]
	v_cndmask_b32_e64 v3, -v4, v4, vcc_lo
	v_cmp_eq_u16_e32 vcc_lo, 0, v6
	v_cndmask_b32_e64 v4, -v16, v16, vcc_lo
	v_cmp_eq_u16_e32 vcc_lo, 0, v12
	v_cndmask_b32_e64 v5, -v11, v11, vcc_lo
	v_cmp_gt_u32_e32 vcc_lo, 64, v10
	v_cndmask_b32_e64 v6, -v13, v13, vcc_lo
	v_cmp_gt_i16_e32 vcc_lo, 0, v7
	v_cndmask_b32_e64 v7, v14, -v14, vcc_lo
	global_store_dwordx4 v[8:9], v[0:3], off
	global_store_dwordx4 v[8:9], v[4:7], off offset:16
	s_endpgm
	.section	.rodata,"a",@progbits
	.p2align	6, 0x0
	.amdhsa_kernel _ZL24dequantize_block_iq3_xxsIfEvPKvPT_
		.amdhsa_group_segment_fixed_size 0
		.amdhsa_private_segment_fixed_size 0
		.amdhsa_kernarg_size 16
		.amdhsa_user_sgpr_count 6
		.amdhsa_user_sgpr_private_segment_buffer 1
		.amdhsa_user_sgpr_dispatch_ptr 0
		.amdhsa_user_sgpr_queue_ptr 0
		.amdhsa_user_sgpr_kernarg_segment_ptr 1
		.amdhsa_user_sgpr_dispatch_id 0
		.amdhsa_user_sgpr_flat_scratch_init 0
		.amdhsa_user_sgpr_private_segment_size 0
		.amdhsa_wavefront_size32 1
		.amdhsa_uses_dynamic_stack 0
		.amdhsa_system_sgpr_private_segment_wavefront_offset 0
		.amdhsa_system_sgpr_workgroup_id_x 1
		.amdhsa_system_sgpr_workgroup_id_y 0
		.amdhsa_system_sgpr_workgroup_id_z 0
		.amdhsa_system_sgpr_workgroup_info 0
		.amdhsa_system_vgpr_workitem_id 0
		.amdhsa_next_free_vgpr 20
		.amdhsa_next_free_sgpr 8
		.amdhsa_reserve_vcc 1
		.amdhsa_reserve_flat_scratch 0
		.amdhsa_float_round_mode_32 0
		.amdhsa_float_round_mode_16_64 0
		.amdhsa_float_denorm_mode_32 3
		.amdhsa_float_denorm_mode_16_64 3
		.amdhsa_dx10_clamp 1
		.amdhsa_ieee_mode 1
		.amdhsa_fp16_overflow 0
		.amdhsa_workgroup_processor_mode 1
		.amdhsa_memory_ordered 1
		.amdhsa_forward_progress 1
		.amdhsa_shared_vgpr_count 0
		.amdhsa_exception_fp_ieee_invalid_op 0
		.amdhsa_exception_fp_denorm_src 0
		.amdhsa_exception_fp_ieee_div_zero 0
		.amdhsa_exception_fp_ieee_overflow 0
		.amdhsa_exception_fp_ieee_underflow 0
		.amdhsa_exception_fp_ieee_inexact 0
		.amdhsa_exception_int_div_zero 0
	.end_amdhsa_kernel
	.section	.text._ZL24dequantize_block_iq3_xxsIfEvPKvPT_,"axG",@progbits,_ZL24dequantize_block_iq3_xxsIfEvPKvPT_,comdat
.Lfunc_end30:
	.size	_ZL24dequantize_block_iq3_xxsIfEvPKvPT_, .Lfunc_end30-_ZL24dequantize_block_iq3_xxsIfEvPKvPT_
                                        ; -- End function
	.set _ZL24dequantize_block_iq3_xxsIfEvPKvPT_.num_vgpr, 20
	.set _ZL24dequantize_block_iq3_xxsIfEvPKvPT_.num_agpr, 0
	.set _ZL24dequantize_block_iq3_xxsIfEvPKvPT_.numbered_sgpr, 8
	.set _ZL24dequantize_block_iq3_xxsIfEvPKvPT_.num_named_barrier, 0
	.set _ZL24dequantize_block_iq3_xxsIfEvPKvPT_.private_seg_size, 0
	.set _ZL24dequantize_block_iq3_xxsIfEvPKvPT_.uses_vcc, 1
	.set _ZL24dequantize_block_iq3_xxsIfEvPKvPT_.uses_flat_scratch, 0
	.set _ZL24dequantize_block_iq3_xxsIfEvPKvPT_.has_dyn_sized_stack, 0
	.set _ZL24dequantize_block_iq3_xxsIfEvPKvPT_.has_recursion, 0
	.set _ZL24dequantize_block_iq3_xxsIfEvPKvPT_.has_indirect_call, 0
	.section	.AMDGPU.csdata,"",@progbits
; Kernel info:
; codeLenInByte = 568
; TotalNumSgprs: 10
; NumVgprs: 20
; ScratchSize: 0
; MemoryBound: 0
; FloatMode: 240
; IeeeMode: 1
; LDSByteSize: 0 bytes/workgroup (compile time only)
; SGPRBlocks: 0
; VGPRBlocks: 2
; NumSGPRsForWavesPerEU: 10
; NumVGPRsForWavesPerEU: 20
; Occupancy: 16
; WaveLimiterHint : 0
; COMPUTE_PGM_RSRC2:SCRATCH_EN: 0
; COMPUTE_PGM_RSRC2:USER_SGPR: 6
; COMPUTE_PGM_RSRC2:TRAP_HANDLER: 0
; COMPUTE_PGM_RSRC2:TGID_X_EN: 1
; COMPUTE_PGM_RSRC2:TGID_Y_EN: 0
; COMPUTE_PGM_RSRC2:TGID_Z_EN: 0
; COMPUTE_PGM_RSRC2:TIDIG_COMP_CNT: 0
	.section	.text._ZL22dequantize_block_iq1_sIfEvPKvPT_,"axG",@progbits,_ZL22dequantize_block_iq1_sIfEvPKvPT_,comdat
	.globl	_ZL22dequantize_block_iq1_sIfEvPKvPT_ ; -- Begin function _ZL22dequantize_block_iq1_sIfEvPKvPT_
	.p2align	8
	.type	_ZL22dequantize_block_iq1_sIfEvPKvPT_,@function
_ZL22dequantize_block_iq1_sIfEvPKvPT_:  ; @_ZL22dequantize_block_iq1_sIfEvPKvPT_
; %bb.0:
	s_load_dwordx4 s[0:3], s[4:5], 0x0
	v_and_b32_e32 v3, 7, v0
	s_mov_b32 s7, 0
	v_lshrrev_b32_e32 v4, 3, v0
	s_lshl_b64 s[4:5], s[6:7], 10
	s_mul_hi_u32 s7, s6, 50
	v_lshlrev_b32_e32 v1, 1, v3
	s_mul_i32 s6, s6, 50
	v_and_b32_e32 v0, 0x3f8, v0
	v_lshlrev_b32_e32 v3, 7, v3
	v_lshlrev_b32_e32 v0, 2, v0
	s_waitcnt lgkmcnt(0)
	s_add_u32 s2, s2, s4
	s_addc_u32 s3, s3, s5
	s_add_u32 s0, s0, s6
	s_addc_u32 s1, s1, s7
	v_add_co_u32 v2, s4, s0, v1
	v_add_co_ci_u32_e64 v5, null, s1, 0, s4
	global_load_ushort v6, v1, s[0:1] offset:34
	v_add_co_u32 v1, vcc_lo, v2, v1
	v_add_co_ci_u32_e64 v2, null, 0, v5, vcc_lo
	v_mov_b32_e32 v5, 0xbf600000
	v_add_co_u32 v1, vcc_lo, v1, v4
	v_add_co_ci_u32_e64 v2, null, 0, v2, vcc_lo
	global_load_ubyte v1, v[1:2], off offset:2
	v_mul_u32_u24_e32 v2, 3, v4
	v_mov_b32_e32 v4, 0
	s_waitcnt vmcnt(1)
	v_lshrrev_b32_sdwa v2, v2, v6 dst_sel:DWORD dst_unused:UNUSED_PAD src0_sel:DWORD src1_sel:WORD_0
	v_lshlrev_b32_e32 v2, 8, v2
	s_waitcnt vmcnt(0)
	v_and_or_b32 v1, 0x700, v2, v1
	global_load_ushort v2, v4, s[0:1]
	s_getpc_b64 s[0:1]
	s_add_u32 s0, s0, _ZL13iq1s_grid_gpu@rel32@lo+4
	s_addc_u32 s1, s1, _ZL13iq1s_grid_gpu@rel32@hi+12
	v_lshrrev_b16 v4, 11, v6
	v_lshlrev_b32_e32 v1, 2, v1
	v_and_b32_e32 v4, 14, v4
	global_load_dword v1, v1, s[0:1]
	v_add_co_u32 v3, s0, s2, v3
	v_or_b32_e32 v4, 1, v4
	v_add_co_ci_u32_e64 v7, null, s3, 0, s0
	v_add_co_u32 v8, vcc_lo, v3, v0
	v_cvt_f32_ubyte0_e32 v4, v4
	v_add_co_ci_u32_e64 v9, null, 0, v7, vcc_lo
	v_cmp_lt_i16_e32 vcc_lo, -1, v6
	v_cndmask_b32_e32 v0, 0xbf900000, v5, vcc_lo
	s_waitcnt vmcnt(1)
	v_cvt_f32_f16_e32 v2, v2
	v_mul_f32_e32 v7, v2, v4
	s_waitcnt vmcnt(0)
	v_and_b32_e32 v2, 0xf000000, v1
	v_and_b32_e32 v3, 15, v1
	v_bfe_u32 v4, v1, 8, 4
	v_bfe_u32 v5, v1, 16, 4
	;; [unrolled: 1-line block ×5, first 2 shown]
	v_lshrrev_b32_e32 v1, 28, v1
	v_cvt_f32_ubyte0_e32 v3, v3
	v_cvt_f32_ubyte0_e32 v4, v4
	;; [unrolled: 1-line block ×3, first 2 shown]
	v_cvt_f32_ubyte3_e32 v2, v2
	v_cvt_f32_ubyte0_e32 v6, v6
	v_cvt_f32_ubyte0_e32 v10, v10
	;; [unrolled: 1-line block ×4, first 2 shown]
	v_add_f32_e32 v3, v0, v3
	v_add_f32_e32 v4, v0, v4
	v_add_f32_e32 v5, v0, v5
	v_add_f32_e32 v12, v0, v2
	v_add_f32_e32 v6, v0, v6
	v_add_f32_e32 v10, v0, v10
	v_add_f32_e32 v11, v0, v11
	v_add_f32_e32 v13, v0, v1
	v_mul_f32_e32 v0, v7, v3
	v_mul_f32_e32 v1, v7, v4
	;; [unrolled: 1-line block ×8, first 2 shown]
	global_store_dwordx4 v[8:9], v[0:3], off
	global_store_dwordx4 v[8:9], v[4:7], off offset:16
	s_endpgm
	.section	.rodata,"a",@progbits
	.p2align	6, 0x0
	.amdhsa_kernel _ZL22dequantize_block_iq1_sIfEvPKvPT_
		.amdhsa_group_segment_fixed_size 0
		.amdhsa_private_segment_fixed_size 0
		.amdhsa_kernarg_size 16
		.amdhsa_user_sgpr_count 6
		.amdhsa_user_sgpr_private_segment_buffer 1
		.amdhsa_user_sgpr_dispatch_ptr 0
		.amdhsa_user_sgpr_queue_ptr 0
		.amdhsa_user_sgpr_kernarg_segment_ptr 1
		.amdhsa_user_sgpr_dispatch_id 0
		.amdhsa_user_sgpr_flat_scratch_init 0
		.amdhsa_user_sgpr_private_segment_size 0
		.amdhsa_wavefront_size32 1
		.amdhsa_uses_dynamic_stack 0
		.amdhsa_system_sgpr_private_segment_wavefront_offset 0
		.amdhsa_system_sgpr_workgroup_id_x 1
		.amdhsa_system_sgpr_workgroup_id_y 0
		.amdhsa_system_sgpr_workgroup_id_z 0
		.amdhsa_system_sgpr_workgroup_info 0
		.amdhsa_system_vgpr_workitem_id 0
		.amdhsa_next_free_vgpr 14
		.amdhsa_next_free_sgpr 8
		.amdhsa_reserve_vcc 1
		.amdhsa_reserve_flat_scratch 0
		.amdhsa_float_round_mode_32 0
		.amdhsa_float_round_mode_16_64 0
		.amdhsa_float_denorm_mode_32 3
		.amdhsa_float_denorm_mode_16_64 3
		.amdhsa_dx10_clamp 1
		.amdhsa_ieee_mode 1
		.amdhsa_fp16_overflow 0
		.amdhsa_workgroup_processor_mode 1
		.amdhsa_memory_ordered 1
		.amdhsa_forward_progress 1
		.amdhsa_shared_vgpr_count 0
		.amdhsa_exception_fp_ieee_invalid_op 0
		.amdhsa_exception_fp_denorm_src 0
		.amdhsa_exception_fp_ieee_div_zero 0
		.amdhsa_exception_fp_ieee_overflow 0
		.amdhsa_exception_fp_ieee_underflow 0
		.amdhsa_exception_fp_ieee_inexact 0
		.amdhsa_exception_int_div_zero 0
	.end_amdhsa_kernel
	.section	.text._ZL22dequantize_block_iq1_sIfEvPKvPT_,"axG",@progbits,_ZL22dequantize_block_iq1_sIfEvPKvPT_,comdat
.Lfunc_end31:
	.size	_ZL22dequantize_block_iq1_sIfEvPKvPT_, .Lfunc_end31-_ZL22dequantize_block_iq1_sIfEvPKvPT_
                                        ; -- End function
	.set _ZL22dequantize_block_iq1_sIfEvPKvPT_.num_vgpr, 14
	.set _ZL22dequantize_block_iq1_sIfEvPKvPT_.num_agpr, 0
	.set _ZL22dequantize_block_iq1_sIfEvPKvPT_.numbered_sgpr, 8
	.set _ZL22dequantize_block_iq1_sIfEvPKvPT_.num_named_barrier, 0
	.set _ZL22dequantize_block_iq1_sIfEvPKvPT_.private_seg_size, 0
	.set _ZL22dequantize_block_iq1_sIfEvPKvPT_.uses_vcc, 1
	.set _ZL22dequantize_block_iq1_sIfEvPKvPT_.uses_flat_scratch, 0
	.set _ZL22dequantize_block_iq1_sIfEvPKvPT_.has_dyn_sized_stack, 0
	.set _ZL22dequantize_block_iq1_sIfEvPKvPT_.has_recursion, 0
	.set _ZL22dequantize_block_iq1_sIfEvPKvPT_.has_indirect_call, 0
	.section	.AMDGPU.csdata,"",@progbits
; Kernel info:
; codeLenInByte = 476
; TotalNumSgprs: 10
; NumVgprs: 14
; ScratchSize: 0
; MemoryBound: 0
; FloatMode: 240
; IeeeMode: 1
; LDSByteSize: 0 bytes/workgroup (compile time only)
; SGPRBlocks: 0
; VGPRBlocks: 1
; NumSGPRsForWavesPerEU: 10
; NumVGPRsForWavesPerEU: 14
; Occupancy: 16
; WaveLimiterHint : 0
; COMPUTE_PGM_RSRC2:SCRATCH_EN: 0
; COMPUTE_PGM_RSRC2:USER_SGPR: 6
; COMPUTE_PGM_RSRC2:TRAP_HANDLER: 0
; COMPUTE_PGM_RSRC2:TGID_X_EN: 1
; COMPUTE_PGM_RSRC2:TGID_Y_EN: 0
; COMPUTE_PGM_RSRC2:TGID_Z_EN: 0
; COMPUTE_PGM_RSRC2:TIDIG_COMP_CNT: 0
	.section	.text._ZL22dequantize_block_iq1_mIfEvPKvPT_,"axG",@progbits,_ZL22dequantize_block_iq1_mIfEvPKvPT_,comdat
	.globl	_ZL22dequantize_block_iq1_mIfEvPKvPT_ ; -- Begin function _ZL22dequantize_block_iq1_mIfEvPKvPT_
	.p2align	8
	.type	_ZL22dequantize_block_iq1_mIfEvPKvPT_,@function
_ZL22dequantize_block_iq1_mIfEvPKvPT_:  ; @_ZL22dequantize_block_iq1_mIfEvPKvPT_
; %bb.0:
	s_load_dwordx4 s[0:3], s[4:5], 0x0
	v_and_b32_e32 v5, 7, v0
	s_mov_b32 s7, 0
	v_lshrrev_b32_e32 v1, 3, v0
	s_lshl_b64 s[4:5], s[6:7], 10
	s_mul_hi_u32 s7, s6, 56
	v_lshlrev_b32_e32 v2, 2, v5
	s_mul_i32 s6, s6, 56
	v_lshrrev_b32_e32 v3, 4, v0
	v_lshlrev_b32_e32 v6, 1, v5
	v_mov_b32_e32 v10, 0xbf600000
	v_add_nc_u32_e32 v7, v6, v3
	s_waitcnt lgkmcnt(0)
	s_add_u32 s2, s2, s4
	s_addc_u32 s3, s3, s5
	s_add_u32 s0, s0, s6
	s_addc_u32 s1, s1, s7
	v_add_co_u32 v2, s4, s0, v2
	v_add_co_ci_u32_e64 v4, null, s1, 0, s4
	v_add_co_u32 v1, vcc_lo, v2, v1
	v_add_co_ci_u32_e64 v2, null, 0, v4, vcc_lo
	s_clause 0x1
	global_load_ubyte v8, v[1:2], off
	global_load_ubyte v9, v7, s[0:1] offset:32
	v_add_nc_u16 v1, v6, v3
	v_mov_b32_e32 v2, 0
	v_lshrrev_b32_e32 v6, 1, v0
	v_and_b32_e32 v7, 3, v7
	v_and_b32_e32 v0, 0x3f8, v0
	v_lshrrev_b16 v1, 1, v1
	v_lshlrev_b32_e32 v0, 2, v0
	v_and_b32_e32 v3, 62, v1
	global_load_dwordx2 v[1:2], v2, s[0:1] offset:48
	v_add_co_u32 v3, s0, s0, v3
	v_add_co_ci_u32_e64 v4, null, s1, 0, s0
	s_getpc_b64 s[0:1]
	s_add_u32 s0, s0, _ZL13iq1s_grid_gpu@rel32@lo+4
	s_addc_u32 s1, s1, _ZL13iq1s_grid_gpu@rel32@hi+12
	global_load_ushort v3, v[3:4], off offset:48
	v_and_b32_e32 v4, 4, v6
	s_waitcnt vmcnt(2)
	v_lshrrev_b32_e32 v4, v4, v9
	v_lshlrev_b32_e32 v6, 8, v4
	v_and_b32_e32 v4, 8, v4
	v_and_or_b32 v6, 0x700, v6, v8
	v_lshlrev_b32_e32 v6, 2, v6
	global_load_dword v6, v6, s[0:1]
	s_waitcnt vmcnt(2)
	v_readfirstlane_b32 s1, v1
	v_mul_u32_u24_e32 v1, 3, v7
	v_readfirstlane_b32 s0, v2
	v_lshlrev_b32_e32 v2, 7, v5
	s_bfe_u32 s5, s1, 0x4000c
	s_waitcnt vmcnt(1)
	v_lshrrev_b32_e32 v1, v1, v3
	s_lshr_b32 s1, s1, 24
	s_lshr_b32 s4, s0, 16
	;; [unrolled: 1-line block ×3, first 2 shown]
	s_and_b32 s1, s1, 0xf0
	v_lshlrev_b32_e32 v1, 1, v1
	s_and_b32 s0, s0, 0xf00
	s_or_b32 s1, s1, s5
	s_and_b32 s4, s4, 0xf000
	s_or_b32 s0, s1, s0
	v_add_co_u32 v2, s1, s2, v2
	v_and_or_b32 v1, v1, 14, 1
	v_add_co_ci_u32_e64 v3, null, s3, 0, s1
	s_or_b32 s0, s0, s4
	v_add_co_u32 v8, vcc_lo, v2, v0
	v_cvt_f32_f16_e32 v5, s0
	v_cvt_f32_ubyte0_e32 v1, v1
	v_add_co_ci_u32_e64 v9, null, 0, v3, vcc_lo
	v_cmp_eq_u32_e32 vcc_lo, 0, v4
	v_mul_f32_e32 v7, v5, v1
	v_cndmask_b32_e32 v0, 0xbf900000, v10, vcc_lo
	s_waitcnt vmcnt(0)
	v_and_b32_e32 v1, 0xf000000, v6
	v_and_b32_e32 v2, 15, v6
	v_bfe_u32 v3, v6, 8, 4
	v_bfe_u32 v4, v6, 16, 4
	;; [unrolled: 1-line block ×5, first 2 shown]
	v_lshrrev_b32_e32 v6, 28, v6
	v_cvt_f32_ubyte0_e32 v2, v2
	v_cvt_f32_ubyte0_e32 v3, v3
	;; [unrolled: 1-line block ×3, first 2 shown]
	v_cvt_f32_ubyte3_e32 v1, v1
	v_cvt_f32_ubyte0_e32 v5, v5
	v_cvt_f32_ubyte0_e32 v10, v10
	;; [unrolled: 1-line block ×4, first 2 shown]
	v_add_f32_e32 v2, v0, v2
	v_add_f32_e32 v3, v0, v3
	;; [unrolled: 1-line block ×8, first 2 shown]
	v_mul_f32_e32 v0, v7, v2
	v_mul_f32_e32 v1, v7, v3
	;; [unrolled: 1-line block ×8, first 2 shown]
	global_store_dwordx4 v[8:9], v[0:3], off
	global_store_dwordx4 v[8:9], v[4:7], off offset:16
	s_endpgm
	.section	.rodata,"a",@progbits
	.p2align	6, 0x0
	.amdhsa_kernel _ZL22dequantize_block_iq1_mIfEvPKvPT_
		.amdhsa_group_segment_fixed_size 0
		.amdhsa_private_segment_fixed_size 0
		.amdhsa_kernarg_size 16
		.amdhsa_user_sgpr_count 6
		.amdhsa_user_sgpr_private_segment_buffer 1
		.amdhsa_user_sgpr_dispatch_ptr 0
		.amdhsa_user_sgpr_queue_ptr 0
		.amdhsa_user_sgpr_kernarg_segment_ptr 1
		.amdhsa_user_sgpr_dispatch_id 0
		.amdhsa_user_sgpr_flat_scratch_init 0
		.amdhsa_user_sgpr_private_segment_size 0
		.amdhsa_wavefront_size32 1
		.amdhsa_uses_dynamic_stack 0
		.amdhsa_system_sgpr_private_segment_wavefront_offset 0
		.amdhsa_system_sgpr_workgroup_id_x 1
		.amdhsa_system_sgpr_workgroup_id_y 0
		.amdhsa_system_sgpr_workgroup_id_z 0
		.amdhsa_system_sgpr_workgroup_info 0
		.amdhsa_system_vgpr_workitem_id 0
		.amdhsa_next_free_vgpr 14
		.amdhsa_next_free_sgpr 8
		.amdhsa_reserve_vcc 1
		.amdhsa_reserve_flat_scratch 0
		.amdhsa_float_round_mode_32 0
		.amdhsa_float_round_mode_16_64 0
		.amdhsa_float_denorm_mode_32 3
		.amdhsa_float_denorm_mode_16_64 3
		.amdhsa_dx10_clamp 1
		.amdhsa_ieee_mode 1
		.amdhsa_fp16_overflow 0
		.amdhsa_workgroup_processor_mode 1
		.amdhsa_memory_ordered 1
		.amdhsa_forward_progress 1
		.amdhsa_shared_vgpr_count 0
		.amdhsa_exception_fp_ieee_invalid_op 0
		.amdhsa_exception_fp_denorm_src 0
		.amdhsa_exception_fp_ieee_div_zero 0
		.amdhsa_exception_fp_ieee_overflow 0
		.amdhsa_exception_fp_ieee_underflow 0
		.amdhsa_exception_fp_ieee_inexact 0
		.amdhsa_exception_int_div_zero 0
	.end_amdhsa_kernel
	.section	.text._ZL22dequantize_block_iq1_mIfEvPKvPT_,"axG",@progbits,_ZL22dequantize_block_iq1_mIfEvPKvPT_,comdat
.Lfunc_end32:
	.size	_ZL22dequantize_block_iq1_mIfEvPKvPT_, .Lfunc_end32-_ZL22dequantize_block_iq1_mIfEvPKvPT_
                                        ; -- End function
	.set _ZL22dequantize_block_iq1_mIfEvPKvPT_.num_vgpr, 14
	.set _ZL22dequantize_block_iq1_mIfEvPKvPT_.num_agpr, 0
	.set _ZL22dequantize_block_iq1_mIfEvPKvPT_.numbered_sgpr, 8
	.set _ZL22dequantize_block_iq1_mIfEvPKvPT_.num_named_barrier, 0
	.set _ZL22dequantize_block_iq1_mIfEvPKvPT_.private_seg_size, 0
	.set _ZL22dequantize_block_iq1_mIfEvPKvPT_.uses_vcc, 1
	.set _ZL22dequantize_block_iq1_mIfEvPKvPT_.uses_flat_scratch, 0
	.set _ZL22dequantize_block_iq1_mIfEvPKvPT_.has_dyn_sized_stack, 0
	.set _ZL22dequantize_block_iq1_mIfEvPKvPT_.has_recursion, 0
	.set _ZL22dequantize_block_iq1_mIfEvPKvPT_.has_indirect_call, 0
	.section	.AMDGPU.csdata,"",@progbits
; Kernel info:
; codeLenInByte = 596
; TotalNumSgprs: 10
; NumVgprs: 14
; ScratchSize: 0
; MemoryBound: 0
; FloatMode: 240
; IeeeMode: 1
; LDSByteSize: 0 bytes/workgroup (compile time only)
; SGPRBlocks: 0
; VGPRBlocks: 1
; NumSGPRsForWavesPerEU: 10
; NumVGPRsForWavesPerEU: 14
; Occupancy: 16
; WaveLimiterHint : 0
; COMPUTE_PGM_RSRC2:SCRATCH_EN: 0
; COMPUTE_PGM_RSRC2:USER_SGPR: 6
; COMPUTE_PGM_RSRC2:TRAP_HANDLER: 0
; COMPUTE_PGM_RSRC2:TGID_X_EN: 1
; COMPUTE_PGM_RSRC2:TGID_Y_EN: 0
; COMPUTE_PGM_RSRC2:TGID_Z_EN: 0
; COMPUTE_PGM_RSRC2:TIDIG_COMP_CNT: 0
	.section	.text._ZL23dequantize_block_iq4_nlIfEvPKvPT_,"axG",@progbits,_ZL23dequantize_block_iq4_nlIfEvPKvPT_,comdat
	.globl	_ZL23dequantize_block_iq4_nlIfEvPKvPT_ ; -- Begin function _ZL23dequantize_block_iq4_nlIfEvPKvPT_
	.p2align	8
	.type	_ZL23dequantize_block_iq4_nlIfEvPKvPT_,@function
_ZL23dequantize_block_iq4_nlIfEvPKvPT_: ; @_ZL23dequantize_block_iq4_nlIfEvPKvPT_
; %bb.0:
	s_load_dwordx4 s[0:3], s[4:5], 0x0
	s_mul_i32 s5, s6, 0x90
	v_and_b32_e32 v4, 7, v0
	s_mul_hi_u32 s4, s6, 0x90
	v_lshrrev_b32_e32 v2, 1, v0
	s_mov_b32 s7, 0
	v_and_b32_e32 v5, 0x1fc, v2
	s_waitcnt lgkmcnt(0)
	s_add_u32 s0, s0, s5
	s_addc_u32 s1, s1, s4
	v_mad_u64_u32 v[0:1], null, v4, 18, s[0:1]
	s_lshl_b64 s[0:1], s[6:7], 10
	s_add_u32 s2, s2, s0
	s_addc_u32 s3, s3, s1
	s_getpc_b64 s[0:1]
	s_add_u32 s0, s0, _ZL13kvalues_iq4nl@rel32@lo+4
	s_addc_u32 s1, s1, _ZL13kvalues_iq4nl@rel32@hi+12
	v_add_co_u32 v2, vcc_lo, v0, v5
	v_add_co_ci_u32_e64 v3, null, 0, v1, vcc_lo
	s_clause 0x1
	global_load_ushort v6, v[0:1], off
	global_load_dword v2, v[2:3], off offset:2
	s_waitcnt vmcnt(1)
	v_cvt_f32_f16_e32 v15, v6
	s_waitcnt vmcnt(0)
	v_lshrrev_b16 v0, 4, v2
	v_lshrrev_b32_e32 v1, 8, v2
	v_lshrrev_b32_e32 v3, 24, v2
	v_and_b32_e32 v7, 15, v2
	v_bfe_u32 v8, v2, 8, 4
	v_and_b32_e32 v0, 15, v0
	v_lshrrev_b16 v1, 4, v1
	v_lshrrev_b16 v3, 4, v3
	v_bfe_u32 v9, v2, 16, 4
	v_bfe_u32 v10, v2, 20, 4
	v_and_b32_e32 v0, 0xffff, v0
	v_and_b32_e32 v11, 15, v1
	v_bfe_u32 v12, v2, 24, 4
	v_and_b32_e32 v2, 0xffff, v3
	v_add_co_u32 v0, s4, s0, v0
	v_and_b32_e32 v3, 0xffff, v11
	v_add_co_ci_u32_e64 v1, null, s1, 0, s4
	s_clause 0x2
	global_load_sbyte v7, v7, s[0:1]
	global_load_sbyte v11, v[0:1], off
	global_load_sbyte v8, v8, s[0:1]
	v_add_co_u32 v0, s4, s0, v3
	v_add_co_ci_u32_e64 v1, null, s1, 0, s4
	v_add_co_u32 v2, s4, s0, v2
	v_add_co_ci_u32_e64 v3, null, s1, 0, s4
	s_clause 0x4
	global_load_sbyte v13, v[0:1], off
	global_load_sbyte v14, v9, s[0:1]
	global_load_sbyte v10, v10, s[0:1]
	;; [unrolled: 1-line block ×3, first 2 shown]
	global_load_sbyte v2, v[2:3], off
	v_lshlrev_b32_e32 v0, 7, v4
	v_lshlrev_b32_e32 v1, 2, v5
	v_add_co_u32 v0, s0, s2, v0
	v_add_co_ci_u32_e64 v3, null, s3, 0, s0
	s_waitcnt vmcnt(7)
	v_cvt_f32_i32_e32 v4, v7
	s_waitcnt vmcnt(6)
	v_cvt_f32_i32_e32 v5, v11
	;; [unrolled: 2-line block ×3, first 2 shown]
	v_add_co_u32 v8, vcc_lo, v0, v1
	v_add_co_ci_u32_e64 v9, null, 0, v3, vcc_lo
	v_mul_f32_e32 v1, v15, v6
	s_waitcnt vmcnt(4)
	v_cvt_f32_i32_e32 v3, v13
	s_waitcnt vmcnt(3)
	v_cvt_f32_i32_e32 v6, v14
	;; [unrolled: 2-line block ×5, first 2 shown]
	v_mul_f32_e32 v0, v15, v4
	v_mul_f32_e32 v4, v15, v5
	;; [unrolled: 1-line block ×7, first 2 shown]
	global_store_dwordx4 v[8:9], v[0:3], off
	global_store_dwordx4 v[8:9], v[4:7], off offset:64
	s_endpgm
	.section	.rodata,"a",@progbits
	.p2align	6, 0x0
	.amdhsa_kernel _ZL23dequantize_block_iq4_nlIfEvPKvPT_
		.amdhsa_group_segment_fixed_size 0
		.amdhsa_private_segment_fixed_size 0
		.amdhsa_kernarg_size 16
		.amdhsa_user_sgpr_count 6
		.amdhsa_user_sgpr_private_segment_buffer 1
		.amdhsa_user_sgpr_dispatch_ptr 0
		.amdhsa_user_sgpr_queue_ptr 0
		.amdhsa_user_sgpr_kernarg_segment_ptr 1
		.amdhsa_user_sgpr_dispatch_id 0
		.amdhsa_user_sgpr_flat_scratch_init 0
		.amdhsa_user_sgpr_private_segment_size 0
		.amdhsa_wavefront_size32 1
		.amdhsa_uses_dynamic_stack 0
		.amdhsa_system_sgpr_private_segment_wavefront_offset 0
		.amdhsa_system_sgpr_workgroup_id_x 1
		.amdhsa_system_sgpr_workgroup_id_y 0
		.amdhsa_system_sgpr_workgroup_id_z 0
		.amdhsa_system_sgpr_workgroup_info 0
		.amdhsa_system_vgpr_workitem_id 0
		.amdhsa_next_free_vgpr 16
		.amdhsa_next_free_sgpr 8
		.amdhsa_reserve_vcc 1
		.amdhsa_reserve_flat_scratch 0
		.amdhsa_float_round_mode_32 0
		.amdhsa_float_round_mode_16_64 0
		.amdhsa_float_denorm_mode_32 3
		.amdhsa_float_denorm_mode_16_64 3
		.amdhsa_dx10_clamp 1
		.amdhsa_ieee_mode 1
		.amdhsa_fp16_overflow 0
		.amdhsa_workgroup_processor_mode 1
		.amdhsa_memory_ordered 1
		.amdhsa_forward_progress 1
		.amdhsa_shared_vgpr_count 0
		.amdhsa_exception_fp_ieee_invalid_op 0
		.amdhsa_exception_fp_denorm_src 0
		.amdhsa_exception_fp_ieee_div_zero 0
		.amdhsa_exception_fp_ieee_overflow 0
		.amdhsa_exception_fp_ieee_underflow 0
		.amdhsa_exception_fp_ieee_inexact 0
		.amdhsa_exception_int_div_zero 0
	.end_amdhsa_kernel
	.section	.text._ZL23dequantize_block_iq4_nlIfEvPKvPT_,"axG",@progbits,_ZL23dequantize_block_iq4_nlIfEvPKvPT_,comdat
.Lfunc_end33:
	.size	_ZL23dequantize_block_iq4_nlIfEvPKvPT_, .Lfunc_end33-_ZL23dequantize_block_iq4_nlIfEvPKvPT_
                                        ; -- End function
	.set _ZL23dequantize_block_iq4_nlIfEvPKvPT_.num_vgpr, 16
	.set _ZL23dequantize_block_iq4_nlIfEvPKvPT_.num_agpr, 0
	.set _ZL23dequantize_block_iq4_nlIfEvPKvPT_.numbered_sgpr, 8
	.set _ZL23dequantize_block_iq4_nlIfEvPKvPT_.num_named_barrier, 0
	.set _ZL23dequantize_block_iq4_nlIfEvPKvPT_.private_seg_size, 0
	.set _ZL23dequantize_block_iq4_nlIfEvPKvPT_.uses_vcc, 1
	.set _ZL23dequantize_block_iq4_nlIfEvPKvPT_.uses_flat_scratch, 0
	.set _ZL23dequantize_block_iq4_nlIfEvPKvPT_.has_dyn_sized_stack, 0
	.set _ZL23dequantize_block_iq4_nlIfEvPKvPT_.has_recursion, 0
	.set _ZL23dequantize_block_iq4_nlIfEvPKvPT_.has_indirect_call, 0
	.section	.AMDGPU.csdata,"",@progbits
; Kernel info:
; codeLenInByte = 520
; TotalNumSgprs: 10
; NumVgprs: 16
; ScratchSize: 0
; MemoryBound: 0
; FloatMode: 240
; IeeeMode: 1
; LDSByteSize: 0 bytes/workgroup (compile time only)
; SGPRBlocks: 0
; VGPRBlocks: 1
; NumSGPRsForWavesPerEU: 10
; NumVGPRsForWavesPerEU: 16
; Occupancy: 16
; WaveLimiterHint : 0
; COMPUTE_PGM_RSRC2:SCRATCH_EN: 0
; COMPUTE_PGM_RSRC2:USER_SGPR: 6
; COMPUTE_PGM_RSRC2:TRAP_HANDLER: 0
; COMPUTE_PGM_RSRC2:TGID_X_EN: 1
; COMPUTE_PGM_RSRC2:TGID_Y_EN: 0
; COMPUTE_PGM_RSRC2:TGID_Z_EN: 0
; COMPUTE_PGM_RSRC2:TIDIG_COMP_CNT: 0
	.section	.text._ZL23dequantize_block_iq4_xsIfEvPKvPT_,"axG",@progbits,_ZL23dequantize_block_iq4_xsIfEvPKvPT_,comdat
	.globl	_ZL23dequantize_block_iq4_xsIfEvPKvPT_ ; -- Begin function _ZL23dequantize_block_iq4_xsIfEvPKvPT_
	.p2align	8
	.type	_ZL23dequantize_block_iq4_xsIfEvPKvPT_,@function
_ZL23dequantize_block_iq4_xsIfEvPKvPT_: ; @_ZL23dequantize_block_iq4_xsIfEvPKvPT_
; %bb.0:
	s_load_dwordx4 s[0:3], s[4:5], 0x0
	v_lshrrev_b32_e32 v1, 1, v0
	v_and_b32_e32 v5, 7, v0
	s_mov_b32 s7, 0
	s_lshl_b64 s[4:5], s[6:7], 10
	v_and_b32_e32 v6, 0x1fc, v1
	v_lshlrev_b32_e32 v1, 4, v5
	s_mul_hi_u32 s7, s6, 0x88
	s_mulk_i32 s6, 0x88
	s_waitcnt lgkmcnt(0)
	s_add_u32 s2, s2, s4
	s_addc_u32 s3, s3, s5
	s_add_u32 s0, s0, s6
	s_addc_u32 s1, s1, s7
	v_add_co_u32 v1, s4, s0, v1
	v_add_co_ci_u32_e64 v2, null, s1, 0, s4
	v_add_co_u32 v1, vcc_lo, v1, v6
	v_add_co_ci_u32_e64 v2, null, 0, v2, vcc_lo
	global_load_dword v3, v[1:2], off offset:8
	v_mov_b32_e32 v1, 0
	v_bfe_u32 v2, v0, 1, 2
	v_lshlrev_b32_e32 v0, 2, v0
	s_clause 0x1
	global_load_dword v7, v1, s[0:1]
	global_load_ubyte v8, v2, s[0:1] offset:4
	s_getpc_b64 s[0:1]
	s_add_u32 s0, s0, _ZL13kvalues_iq4nl@rel32@lo+4
	s_addc_u32 s1, s1, _ZL13kvalues_iq4nl@rel32@hi+12
	v_and_b32_e32 v0, 4, v0
	s_waitcnt vmcnt(2)
	v_lshrrev_b16 v1, 4, v3
	v_lshrrev_b32_e32 v2, 8, v3
	v_lshrrev_b32_e32 v4, 24, v3
	v_and_b32_e32 v9, 15, v3
	v_bfe_u32 v10, v3, 8, 4
	v_and_b32_e32 v1, 15, v1
	v_lshrrev_b16 v2, 4, v2
	v_lshrrev_b16 v4, 4, v4
	v_bfe_u32 v11, v3, 16, 4
	v_bfe_u32 v12, v3, 20, 4
	v_and_b32_e32 v1, 0xffff, v1
	v_and_b32_e32 v13, 15, v2
	v_bfe_u32 v14, v3, 24, 4
	v_and_b32_e32 v3, 0xffff, v4
	s_waitcnt vmcnt(0)
	v_bfe_u32 v0, v8, v0, 4
	v_add_co_u32 v1, s4, s0, v1
	v_and_b32_e32 v4, 0xffff, v13
	v_add_co_ci_u32_e64 v2, null, s1, 0, s4
	s_clause 0x2
	global_load_sbyte v9, v9, s[0:1]
	global_load_sbyte v13, v[1:2], off
	global_load_sbyte v10, v10, s[0:1]
	v_add_co_u32 v1, s4, s0, v4
	v_add_co_ci_u32_e64 v2, null, s1, 0, s4
	v_add_co_u32 v3, s4, s0, v3
	v_add_co_ci_u32_e64 v4, null, s1, 0, s4
	s_clause 0x4
	global_load_sbyte v2, v[1:2], off
	global_load_sbyte v11, v11, s[0:1]
	global_load_sbyte v12, v12, s[0:1]
	;; [unrolled: 1-line block ×3, first 2 shown]
	global_load_sbyte v3, v[3:4], off
	v_lshlrev_b32_e32 v1, 1, v5
	v_lshlrev_b32_e32 v4, 2, v6
	v_lshrrev_b32_sdwa v1, v1, v7 dst_sel:DWORD dst_unused:UNUSED_PAD src0_sel:DWORD src1_sel:WORD_1
	v_lshlrev_b32_e32 v1, 4, v1
	v_and_or_b32 v0, v1, 48, v0
	v_lshlrev_b32_e32 v1, 7, v5
	v_cvt_f32_f16_e32 v5, v7
	v_subrev_nc_u32_e32 v0, 32, v0
	v_add_co_u32 v1, s0, s2, v1
	v_add_co_ci_u32_e64 v6, null, s3, 0, s0
	v_cvt_f32_i32_e32 v0, v0
	v_add_co_u32 v8, vcc_lo, v1, v4
	v_mul_f32_e32 v7, v5, v0
	s_waitcnt vmcnt(7)
	v_cvt_f32_i32_e32 v0, v9
	s_waitcnt vmcnt(6)
	v_cvt_f32_i32_e32 v5, v13
	;; [unrolled: 2-line block ×3, first 2 shown]
	v_add_co_ci_u32_e64 v9, null, 0, v6, vcc_lo
	v_mul_f32_e32 v0, v7, v0
	v_mul_f32_e32 v4, v7, v5
	s_waitcnt vmcnt(4)
	v_cvt_f32_i32_e32 v2, v2
	s_waitcnt vmcnt(3)
	v_cvt_f32_i32_e32 v6, v11
	v_mul_f32_e32 v1, v7, v10
	s_waitcnt vmcnt(1)
	v_cvt_f32_i32_e32 v11, v14
	v_cvt_f32_i32_e32 v10, v12
	s_waitcnt vmcnt(0)
	v_cvt_f32_i32_e32 v12, v3
	v_mul_f32_e32 v5, v7, v2
	v_mul_f32_e32 v2, v7, v6
	;; [unrolled: 1-line block ×5, first 2 shown]
	global_store_dwordx4 v[8:9], v[0:3], off
	global_store_dwordx4 v[8:9], v[4:7], off offset:64
	s_endpgm
	.section	.rodata,"a",@progbits
	.p2align	6, 0x0
	.amdhsa_kernel _ZL23dequantize_block_iq4_xsIfEvPKvPT_
		.amdhsa_group_segment_fixed_size 0
		.amdhsa_private_segment_fixed_size 0
		.amdhsa_kernarg_size 16
		.amdhsa_user_sgpr_count 6
		.amdhsa_user_sgpr_private_segment_buffer 1
		.amdhsa_user_sgpr_dispatch_ptr 0
		.amdhsa_user_sgpr_queue_ptr 0
		.amdhsa_user_sgpr_kernarg_segment_ptr 1
		.amdhsa_user_sgpr_dispatch_id 0
		.amdhsa_user_sgpr_flat_scratch_init 0
		.amdhsa_user_sgpr_private_segment_size 0
		.amdhsa_wavefront_size32 1
		.amdhsa_uses_dynamic_stack 0
		.amdhsa_system_sgpr_private_segment_wavefront_offset 0
		.amdhsa_system_sgpr_workgroup_id_x 1
		.amdhsa_system_sgpr_workgroup_id_y 0
		.amdhsa_system_sgpr_workgroup_id_z 0
		.amdhsa_system_sgpr_workgroup_info 0
		.amdhsa_system_vgpr_workitem_id 0
		.amdhsa_next_free_vgpr 15
		.amdhsa_next_free_sgpr 8
		.amdhsa_reserve_vcc 1
		.amdhsa_reserve_flat_scratch 0
		.amdhsa_float_round_mode_32 0
		.amdhsa_float_round_mode_16_64 0
		.amdhsa_float_denorm_mode_32 3
		.amdhsa_float_denorm_mode_16_64 3
		.amdhsa_dx10_clamp 1
		.amdhsa_ieee_mode 1
		.amdhsa_fp16_overflow 0
		.amdhsa_workgroup_processor_mode 1
		.amdhsa_memory_ordered 1
		.amdhsa_forward_progress 1
		.amdhsa_shared_vgpr_count 0
		.amdhsa_exception_fp_ieee_invalid_op 0
		.amdhsa_exception_fp_denorm_src 0
		.amdhsa_exception_fp_ieee_div_zero 0
		.amdhsa_exception_fp_ieee_overflow 0
		.amdhsa_exception_fp_ieee_underflow 0
		.amdhsa_exception_fp_ieee_inexact 0
		.amdhsa_exception_int_div_zero 0
	.end_amdhsa_kernel
	.section	.text._ZL23dequantize_block_iq4_xsIfEvPKvPT_,"axG",@progbits,_ZL23dequantize_block_iq4_xsIfEvPKvPT_,comdat
.Lfunc_end34:
	.size	_ZL23dequantize_block_iq4_xsIfEvPKvPT_, .Lfunc_end34-_ZL23dequantize_block_iq4_xsIfEvPKvPT_
                                        ; -- End function
	.set _ZL23dequantize_block_iq4_xsIfEvPKvPT_.num_vgpr, 15
	.set _ZL23dequantize_block_iq4_xsIfEvPKvPT_.num_agpr, 0
	.set _ZL23dequantize_block_iq4_xsIfEvPKvPT_.numbered_sgpr, 8
	.set _ZL23dequantize_block_iq4_xsIfEvPKvPT_.num_named_barrier, 0
	.set _ZL23dequantize_block_iq4_xsIfEvPKvPT_.private_seg_size, 0
	.set _ZL23dequantize_block_iq4_xsIfEvPKvPT_.uses_vcc, 1
	.set _ZL23dequantize_block_iq4_xsIfEvPKvPT_.uses_flat_scratch, 0
	.set _ZL23dequantize_block_iq4_xsIfEvPKvPT_.has_dyn_sized_stack, 0
	.set _ZL23dequantize_block_iq4_xsIfEvPKvPT_.has_recursion, 0
	.set _ZL23dequantize_block_iq4_xsIfEvPKvPT_.has_indirect_call, 0
	.section	.AMDGPU.csdata,"",@progbits
; Kernel info:
; codeLenInByte = 596
; TotalNumSgprs: 10
; NumVgprs: 15
; ScratchSize: 0
; MemoryBound: 0
; FloatMode: 240
; IeeeMode: 1
; LDSByteSize: 0 bytes/workgroup (compile time only)
; SGPRBlocks: 0
; VGPRBlocks: 1
; NumSGPRsForWavesPerEU: 10
; NumVGPRsForWavesPerEU: 15
; Occupancy: 16
; WaveLimiterHint : 0
; COMPUTE_PGM_RSRC2:SCRATCH_EN: 0
; COMPUTE_PGM_RSRC2:USER_SGPR: 6
; COMPUTE_PGM_RSRC2:TRAP_HANDLER: 0
; COMPUTE_PGM_RSRC2:TGID_X_EN: 1
; COMPUTE_PGM_RSRC2:TGID_Y_EN: 0
; COMPUTE_PGM_RSRC2:TGID_Z_EN: 0
; COMPUTE_PGM_RSRC2:TIDIG_COMP_CNT: 0
	.section	.text._ZL22dequantize_block_iq3_sIfEvPKvPT_,"axG",@progbits,_ZL22dequantize_block_iq3_sIfEvPKvPT_,comdat
	.globl	_ZL22dequantize_block_iq3_sIfEvPKvPT_ ; -- Begin function _ZL22dequantize_block_iq3_sIfEvPKvPT_
	.p2align	8
	.type	_ZL22dequantize_block_iq3_sIfEvPKvPT_,@function
_ZL22dequantize_block_iq3_sIfEvPKvPT_:  ; @_ZL22dequantize_block_iq3_sIfEvPKvPT_
; %bb.0:
	s_load_dwordx4 s[0:3], s[4:5], 0x0
	s_mov_b32 s7, 0
	v_and_b32_e32 v6, 7, v0
	s_lshl_b64 s[4:5], s[6:7], 10
	s_mul_hi_u32 s7, s6, 0x6e
	s_mulk_i32 s6, 0x6e
	v_lshrrev_b32_e32 v5, 3, v0
	v_lshlrev_b32_e32 v3, 3, v6
	v_bfe_u32 v8, v0, 1, 2
	v_lshlrev_b32_e32 v7, 1, v5
	s_waitcnt lgkmcnt(0)
	s_add_u32 s2, s2, s4
	s_addc_u32 s3, s3, s5
	s_add_u32 s0, s0, s6
	s_addc_u32 s1, s1, s7
	v_add_co_u32 v1, s4, s0, v6
	v_add_co_ci_u32_e64 v2, null, s1, 0, s4
	v_add_co_u32 v3, s4, s0, v3
	v_add_co_ci_u32_e64 v4, null, s1, 0, s4
	v_mad_u64_u32 v[1:2], null, v6, 3, v[1:2]
	v_add_co_u32 v3, vcc_lo, v3, v7
	v_add_co_ci_u32_e64 v4, null, 0, v4, vcc_lo
	v_add_co_u32 v1, vcc_lo, v1, v5
	v_add_co_ci_u32_e64 v2, null, 0, v2, vcc_lo
	s_clause 0x3
	global_load_ushort v3, v[3:4], off offset:2
	global_load_ubyte v4, v8, s[0:1] offset:106
	global_load_sbyte v10, v[1:2], off offset:74
	global_load_ubyte v1, v6, s[0:1] offset:66
	v_mov_b32_e32 v2, 0xffff
	v_sub_nc_u32_e32 v5, 8, v7
	v_sub_nc_u32_e32 v7, 7, v7
	v_mov_b32_e32 v8, 0
	v_lshlrev_b32_e32 v6, 7, v6
	s_waitcnt vmcnt(3)
	v_and_b32_e32 v9, 0xff, v3
	v_and_b32_sdwa v2, v2, v3 dst_sel:DWORD dst_unused:UNUSED_PAD src0_sel:DWORD src1_sel:BYTE_1
	s_waitcnt vmcnt(1)
	v_and_b32_e32 v11, 4, v10
	s_waitcnt vmcnt(0)
	v_lshlrev_b32_e32 v3, v5, v1
	v_lshlrev_b32_e32 v1, v7, v1
	global_load_ushort v5, v8, s[0:1]
	s_getpc_b64 s[0:1]
	s_add_u32 s0, s0, _ZL9iq3s_grid@rel32@lo+4
	s_addc_u32 s1, s1, _ZL9iq3s_grid@rel32@hi+12
	v_and_b32_e32 v7, 32, v10
	v_and_or_b32 v3, 0x100, v3, v9
	v_and_or_b32 v1, 0x100, v1, v2
	v_and_b32_e32 v12, 64, v10
	v_and_b32_e32 v13, 8, v10
	v_lshlrev_b32_e32 v2, 2, v3
	v_lshlrev_b32_e32 v1, 2, v1
	;; [unrolled: 1-line block ×3, first 2 shown]
	v_and_b32_e32 v0, 0x3f8, v0
	s_clause 0x1
	global_load_dword v2, v2, s[0:1]
	global_load_dword v1, v1, s[0:1]
	v_and_b32_e32 v3, 4, v3
	v_lshlrev_b32_e32 v0, 2, v0
	v_lshrrev_b32_e32 v3, v3, v4
	v_add_co_u32 v4, s0, s2, v6
	v_add_co_ci_u32_e64 v6, null, s3, 0, s0
	v_lshlrev_b32_e32 v3, 1, v3
	v_add_co_u32 v8, vcc_lo, v4, v0
	v_and_b32_e32 v4, 1, v10
	v_add_co_ci_u32_e64 v9, null, 0, v6, vcc_lo
	v_and_or_b32 v0, v3, 30, 1
	v_and_b32_e32 v6, 2, v10
	v_cmp_eq_u16_e32 vcc_lo, 0, v4
	v_cvt_f32_ubyte0_e32 v0, v0
	s_waitcnt vmcnt(2)
	v_cvt_f32_f16_e32 v3, v5
	v_and_b32_e32 v5, 16, v10
	v_mul_f32_e32 v0, v3, v0
	s_waitcnt vmcnt(1)
	v_cvt_f32_ubyte0_e32 v3, v2
	s_waitcnt vmcnt(0)
	v_cvt_f32_ubyte0_e32 v14, v1
	v_cvt_f32_ubyte1_e32 v15, v2
	v_cvt_f32_ubyte1_e32 v16, v1
	v_cvt_f32_ubyte2_e32 v17, v2
	v_cvt_f32_ubyte2_e32 v18, v1
	v_cvt_f32_ubyte3_e32 v2, v2
	v_cvt_f32_ubyte3_e32 v1, v1
	v_mul_f32_e32 v3, v0, v3
	v_mul_f32_e32 v14, v0, v14
	;; [unrolled: 1-line block ×8, first 2 shown]
	v_cndmask_b32_e64 v0, -v3, v3, vcc_lo
	v_cmp_eq_u16_e32 vcc_lo, 0, v5
	v_cndmask_b32_e64 v4, -v14, v14, vcc_lo
	v_cmp_eq_u16_e32 vcc_lo, 0, v6
	;; [unrolled: 2-line block ×6, first 2 shown]
	v_cndmask_b32_e64 v3, -v19, v19, vcc_lo
	v_cmp_gt_i16_e32 vcc_lo, 0, v10
	v_cndmask_b32_e64 v7, v20, -v20, vcc_lo
	global_store_dwordx4 v[8:9], v[0:3], off
	global_store_dwordx4 v[8:9], v[4:7], off offset:16
	s_endpgm
	.section	.rodata,"a",@progbits
	.p2align	6, 0x0
	.amdhsa_kernel _ZL22dequantize_block_iq3_sIfEvPKvPT_
		.amdhsa_group_segment_fixed_size 0
		.amdhsa_private_segment_fixed_size 0
		.amdhsa_kernarg_size 16
		.amdhsa_user_sgpr_count 6
		.amdhsa_user_sgpr_private_segment_buffer 1
		.amdhsa_user_sgpr_dispatch_ptr 0
		.amdhsa_user_sgpr_queue_ptr 0
		.amdhsa_user_sgpr_kernarg_segment_ptr 1
		.amdhsa_user_sgpr_dispatch_id 0
		.amdhsa_user_sgpr_flat_scratch_init 0
		.amdhsa_user_sgpr_private_segment_size 0
		.amdhsa_wavefront_size32 1
		.amdhsa_uses_dynamic_stack 0
		.amdhsa_system_sgpr_private_segment_wavefront_offset 0
		.amdhsa_system_sgpr_workgroup_id_x 1
		.amdhsa_system_sgpr_workgroup_id_y 0
		.amdhsa_system_sgpr_workgroup_id_z 0
		.amdhsa_system_sgpr_workgroup_info 0
		.amdhsa_system_vgpr_workitem_id 0
		.amdhsa_next_free_vgpr 21
		.amdhsa_next_free_sgpr 8
		.amdhsa_reserve_vcc 1
		.amdhsa_reserve_flat_scratch 0
		.amdhsa_float_round_mode_32 0
		.amdhsa_float_round_mode_16_64 0
		.amdhsa_float_denorm_mode_32 3
		.amdhsa_float_denorm_mode_16_64 3
		.amdhsa_dx10_clamp 1
		.amdhsa_ieee_mode 1
		.amdhsa_fp16_overflow 0
		.amdhsa_workgroup_processor_mode 1
		.amdhsa_memory_ordered 1
		.amdhsa_forward_progress 1
		.amdhsa_shared_vgpr_count 0
		.amdhsa_exception_fp_ieee_invalid_op 0
		.amdhsa_exception_fp_denorm_src 0
		.amdhsa_exception_fp_ieee_div_zero 0
		.amdhsa_exception_fp_ieee_overflow 0
		.amdhsa_exception_fp_ieee_underflow 0
		.amdhsa_exception_fp_ieee_inexact 0
		.amdhsa_exception_int_div_zero 0
	.end_amdhsa_kernel
	.section	.text._ZL22dequantize_block_iq3_sIfEvPKvPT_,"axG",@progbits,_ZL22dequantize_block_iq3_sIfEvPKvPT_,comdat
.Lfunc_end35:
	.size	_ZL22dequantize_block_iq3_sIfEvPKvPT_, .Lfunc_end35-_ZL22dequantize_block_iq3_sIfEvPKvPT_
                                        ; -- End function
	.set _ZL22dequantize_block_iq3_sIfEvPKvPT_.num_vgpr, 21
	.set _ZL22dequantize_block_iq3_sIfEvPKvPT_.num_agpr, 0
	.set _ZL22dequantize_block_iq3_sIfEvPKvPT_.numbered_sgpr, 8
	.set _ZL22dequantize_block_iq3_sIfEvPKvPT_.num_named_barrier, 0
	.set _ZL22dequantize_block_iq3_sIfEvPKvPT_.private_seg_size, 0
	.set _ZL22dequantize_block_iq3_sIfEvPKvPT_.uses_vcc, 1
	.set _ZL22dequantize_block_iq3_sIfEvPKvPT_.uses_flat_scratch, 0
	.set _ZL22dequantize_block_iq3_sIfEvPKvPT_.has_dyn_sized_stack, 0
	.set _ZL22dequantize_block_iq3_sIfEvPKvPT_.has_recursion, 0
	.set _ZL22dequantize_block_iq3_sIfEvPKvPT_.has_indirect_call, 0
	.section	.AMDGPU.csdata,"",@progbits
; Kernel info:
; codeLenInByte = 620
; TotalNumSgprs: 10
; NumVgprs: 21
; ScratchSize: 0
; MemoryBound: 0
; FloatMode: 240
; IeeeMode: 1
; LDSByteSize: 0 bytes/workgroup (compile time only)
; SGPRBlocks: 0
; VGPRBlocks: 2
; NumSGPRsForWavesPerEU: 10
; NumVGPRsForWavesPerEU: 21
; Occupancy: 16
; WaveLimiterHint : 0
; COMPUTE_PGM_RSRC2:SCRATCH_EN: 0
; COMPUTE_PGM_RSRC2:USER_SGPR: 6
; COMPUTE_PGM_RSRC2:TRAP_HANDLER: 0
; COMPUTE_PGM_RSRC2:TGID_X_EN: 1
; COMPUTE_PGM_RSRC2:TGID_Y_EN: 0
; COMPUTE_PGM_RSRC2:TGID_Z_EN: 0
; COMPUTE_PGM_RSRC2:TIDIG_COMP_CNT: 0
	.section	.text._ZL22dequantize_block_mxfp4IfEvPKvPT_,"axG",@progbits,_ZL22dequantize_block_mxfp4IfEvPKvPT_,comdat
	.globl	_ZL22dequantize_block_mxfp4IfEvPKvPT_ ; -- Begin function _ZL22dequantize_block_mxfp4IfEvPKvPT_
	.p2align	8
	.type	_ZL22dequantize_block_mxfp4IfEvPKvPT_,@function
_ZL22dequantize_block_mxfp4IfEvPKvPT_:  ; @_ZL22dequantize_block_mxfp4IfEvPKvPT_
; %bb.0:
	s_load_dwordx4 s[0:3], s[4:5], 0x0
	s_mul_i32 s5, s6, 0x88
	v_and_b32_e32 v4, 7, v0
	s_mul_hi_u32 s4, s6, 0x88
	v_lshrrev_b32_e32 v2, 1, v0
	s_mov_b32 s7, 0
	v_and_b32_e32 v5, 0x1fc, v2
	s_waitcnt lgkmcnt(0)
	s_add_u32 s0, s0, s5
	s_addc_u32 s1, s1, s4
	v_mad_u64_u32 v[0:1], null, v4, 17, s[0:1]
	s_lshl_b64 s[0:1], s[6:7], 10
	s_add_u32 s2, s2, s0
	s_addc_u32 s3, s3, s1
	s_getpc_b64 s[0:1]
	s_add_u32 s0, s0, _ZL13kvalues_mxfp4@rel32@lo+4
	s_addc_u32 s1, s1, _ZL13kvalues_mxfp4@rel32@hi+12
	v_add_co_u32 v2, vcc_lo, v0, v5
	v_add_co_ci_u32_e64 v3, null, 0, v1, vcc_lo
	s_clause 0x1
	global_load_ubyte v6, v[0:1], off
	global_load_dword v2, v[2:3], off offset:1
	s_waitcnt vmcnt(1)
	v_cmp_ne_u32_e32 vcc_lo, 0, v6
	s_waitcnt vmcnt(0)
	v_lshrrev_b16 v0, 4, v2
	v_lshrrev_b32_e32 v1, 8, v2
	v_lshrrev_b32_e32 v3, 24, v2
	v_and_b32_e32 v7, 15, v2
	v_bfe_u32 v8, v2, 8, 4
	v_and_b32_e32 v0, 15, v0
	v_lshrrev_b16 v1, 4, v1
	v_lshrrev_b16 v3, 4, v3
	v_bfe_u32 v9, v2, 16, 4
	v_bfe_u32 v11, v2, 20, 4
	v_and_b32_e32 v0, 0xffff, v0
	v_and_b32_e32 v10, 15, v1
	v_bfe_u32 v12, v2, 24, 4
	v_and_b32_e32 v3, 0xffff, v3
	global_load_sbyte v7, v7, s[0:1]
	v_add_co_u32 v0, s4, s0, v0
	v_add_co_ci_u32_e64 v1, null, s1, 0, s4
	v_and_b32_e32 v2, 0xffff, v10
	s_clause 0x1
	global_load_sbyte v10, v[0:1], off
	global_load_sbyte v8, v8, s[0:1]
	v_add_co_u32 v0, s4, s0, v2
	v_add_co_ci_u32_e64 v1, null, s1, 0, s4
	v_add_co_u32 v2, s4, s0, v3
	v_add_co_ci_u32_e64 v3, null, s1, 0, s4
	s_clause 0x4
	global_load_sbyte v1, v[0:1], off
	global_load_sbyte v13, v9, s[0:1]
	global_load_sbyte v11, v11, s[0:1]
	;; [unrolled: 1-line block ×3, first 2 shown]
	global_load_sbyte v2, v[2:3], off
	v_lshlrev_b32_e32 v3, 7, v4
	v_lshlrev_b32_e32 v0, 23, v6
	;; [unrolled: 1-line block ×3, first 2 shown]
	v_add_co_u32 v3, s0, s2, v3
	v_cndmask_b32_e32 v5, 0x400000, v0, vcc_lo
	v_add_co_ci_u32_e64 v6, null, s3, 0, s0
	s_waitcnt vmcnt(7)
	v_cvt_f32_i32_e32 v0, v7
	v_mul_f32_e32 v0, v5, v0
	s_waitcnt vmcnt(6)
	v_cvt_f32_i32_e32 v7, v10
	s_waitcnt vmcnt(5)
	v_cvt_f32_i32_e32 v10, v8
	v_add_co_u32 v8, vcc_lo, v3, v4
	v_add_co_ci_u32_e64 v9, null, 0, v6, vcc_lo
	v_mul_f32_e32 v3, v5, v7
	v_mul_f32_e32 v6, v5, v10
	s_waitcnt vmcnt(4)
	v_cvt_f32_i32_e32 v7, v1
	s_waitcnt vmcnt(3)
	v_cvt_f32_i32_e32 v10, v13
	;; [unrolled: 2-line block ×3, first 2 shown]
	v_cvt_f32_i32_e32 v11, v11
	s_waitcnt vmcnt(0)
	v_cvt_f32_i32_e32 v2, v2
	v_mul_f32_e32 v4, 0.5, v3
	v_mul_f32_e32 v1, 0.5, v6
	v_mul_f32_e32 v3, v5, v7
	v_mul_f32_e32 v6, v5, v10
	;; [unrolled: 1-line block ×5, first 2 shown]
	v_mul_f32_e32 v0, 0.5, v0
	v_mul_f32_e32 v5, 0.5, v3
	;; [unrolled: 1-line block ×6, first 2 shown]
	global_store_dwordx4 v[8:9], v[0:3], off
	global_store_dwordx4 v[8:9], v[4:7], off offset:64
	s_endpgm
	.section	.rodata,"a",@progbits
	.p2align	6, 0x0
	.amdhsa_kernel _ZL22dequantize_block_mxfp4IfEvPKvPT_
		.amdhsa_group_segment_fixed_size 0
		.amdhsa_private_segment_fixed_size 0
		.amdhsa_kernarg_size 16
		.amdhsa_user_sgpr_count 6
		.amdhsa_user_sgpr_private_segment_buffer 1
		.amdhsa_user_sgpr_dispatch_ptr 0
		.amdhsa_user_sgpr_queue_ptr 0
		.amdhsa_user_sgpr_kernarg_segment_ptr 1
		.amdhsa_user_sgpr_dispatch_id 0
		.amdhsa_user_sgpr_flat_scratch_init 0
		.amdhsa_user_sgpr_private_segment_size 0
		.amdhsa_wavefront_size32 1
		.amdhsa_uses_dynamic_stack 0
		.amdhsa_system_sgpr_private_segment_wavefront_offset 0
		.amdhsa_system_sgpr_workgroup_id_x 1
		.amdhsa_system_sgpr_workgroup_id_y 0
		.amdhsa_system_sgpr_workgroup_id_z 0
		.amdhsa_system_sgpr_workgroup_info 0
		.amdhsa_system_vgpr_workitem_id 0
		.amdhsa_next_free_vgpr 14
		.amdhsa_next_free_sgpr 8
		.amdhsa_reserve_vcc 1
		.amdhsa_reserve_flat_scratch 0
		.amdhsa_float_round_mode_32 0
		.amdhsa_float_round_mode_16_64 0
		.amdhsa_float_denorm_mode_32 3
		.amdhsa_float_denorm_mode_16_64 3
		.amdhsa_dx10_clamp 1
		.amdhsa_ieee_mode 1
		.amdhsa_fp16_overflow 0
		.amdhsa_workgroup_processor_mode 1
		.amdhsa_memory_ordered 1
		.amdhsa_forward_progress 1
		.amdhsa_shared_vgpr_count 0
		.amdhsa_exception_fp_ieee_invalid_op 0
		.amdhsa_exception_fp_denorm_src 0
		.amdhsa_exception_fp_ieee_div_zero 0
		.amdhsa_exception_fp_ieee_overflow 0
		.amdhsa_exception_fp_ieee_underflow 0
		.amdhsa_exception_fp_ieee_inexact 0
		.amdhsa_exception_int_div_zero 0
	.end_amdhsa_kernel
	.section	.text._ZL22dequantize_block_mxfp4IfEvPKvPT_,"axG",@progbits,_ZL22dequantize_block_mxfp4IfEvPKvPT_,comdat
.Lfunc_end36:
	.size	_ZL22dequantize_block_mxfp4IfEvPKvPT_, .Lfunc_end36-_ZL22dequantize_block_mxfp4IfEvPKvPT_
                                        ; -- End function
	.set _ZL22dequantize_block_mxfp4IfEvPKvPT_.num_vgpr, 14
	.set _ZL22dequantize_block_mxfp4IfEvPKvPT_.num_agpr, 0
	.set _ZL22dequantize_block_mxfp4IfEvPKvPT_.numbered_sgpr, 8
	.set _ZL22dequantize_block_mxfp4IfEvPKvPT_.num_named_barrier, 0
	.set _ZL22dequantize_block_mxfp4IfEvPKvPT_.private_seg_size, 0
	.set _ZL22dequantize_block_mxfp4IfEvPKvPT_.uses_vcc, 1
	.set _ZL22dequantize_block_mxfp4IfEvPKvPT_.uses_flat_scratch, 0
	.set _ZL22dequantize_block_mxfp4IfEvPKvPT_.has_dyn_sized_stack, 0
	.set _ZL22dequantize_block_mxfp4IfEvPKvPT_.has_recursion, 0
	.set _ZL22dequantize_block_mxfp4IfEvPKvPT_.has_indirect_call, 0
	.section	.AMDGPU.csdata,"",@progbits
; Kernel info:
; codeLenInByte = 560
; TotalNumSgprs: 10
; NumVgprs: 14
; ScratchSize: 0
; MemoryBound: 0
; FloatMode: 240
; IeeeMode: 1
; LDSByteSize: 0 bytes/workgroup (compile time only)
; SGPRBlocks: 0
; VGPRBlocks: 1
; NumSGPRsForWavesPerEU: 10
; NumVGPRsForWavesPerEU: 14
; Occupancy: 16
; WaveLimiterHint : 0
; COMPUTE_PGM_RSRC2:SCRATCH_EN: 0
; COMPUTE_PGM_RSRC2:USER_SGPR: 6
; COMPUTE_PGM_RSRC2:TRAP_HANDLER: 0
; COMPUTE_PGM_RSRC2:TGID_X_EN: 1
; COMPUTE_PGM_RSRC2:TGID_Y_EN: 0
; COMPUTE_PGM_RSRC2:TGID_Z_EN: 0
; COMPUTE_PGM_RSRC2:TIDIG_COMP_CNT: 0
	.section	.text._ZL22dequantize_block_nvfp4IfEvPKvPT_l,"axG",@progbits,_ZL22dequantize_block_nvfp4IfEvPKvPT_l,comdat
	.globl	_ZL22dequantize_block_nvfp4IfEvPKvPT_l ; -- Begin function _ZL22dequantize_block_nvfp4IfEvPKvPT_l
	.p2align	8
	.type	_ZL22dequantize_block_nvfp4IfEvPKvPT_l,@function
_ZL22dequantize_block_nvfp4IfEvPKvPT_l: ; @_ZL22dequantize_block_nvfp4IfEvPKvPT_l
; %bb.0:
	s_load_dwordx2 s[2:3], s[4:5], 0x10
	s_mov_b32 s7, 0
	s_lshl_b64 s[0:1], s[6:7], 6
	s_waitcnt lgkmcnt(0)
	v_cmp_ge_i64_e64 s2, s[0:1], s[2:3]
	s_and_b32 vcc_lo, exec_lo, s2
	s_cbranch_vccnz .LBB37_6
; %bb.1:
	s_load_dwordx2 s[2:3], s[4:5], 0x0
	s_mul_i32 s8, s6, 36
	v_lshrrev_b32_e32 v1, 3, v0
	s_mul_hi_u32 s6, s6, 36
	s_waitcnt lgkmcnt(0)
	s_add_u32 s8, s2, s8
	s_addc_u32 s9, s3, s6
	s_mov_b32 s2, exec_lo
	global_load_ubyte v3, v1, s[8:9]
	s_waitcnt vmcnt(0)
	v_cmpx_lt_i16_e32 0x7e, v3
	s_xor_b32 s2, exec_lo, s2
	s_cbranch_execnz .LBB37_7
; %bb.2:
	s_or_saveexec_b32 s6, s2
	s_load_dwordx2 s[2:3], s[4:5], 0x8
	s_xor_b32 exec_lo, exec_lo, s6
	s_cbranch_execnz .LBB37_8
.LBB37_3:
	s_or_b32 exec_lo, exec_lo, s6
	v_mov_b32_e32 v2, 0
	s_and_saveexec_b32 s4, s7
	s_cbranch_execz .LBB37_5
.LBB37_4:
	v_and_b32_e32 v2, 0xffff, v3
	v_mov_b32_e32 v4, 1.0
	v_and_b32_e32 v3, 7, v2
	v_bfe_u32 v2, v2, 3, 4
	v_cvt_f32_ubyte0_e32 v3, v3
	v_add_nc_u32_e32 v5, -7, v2
	v_cmp_eq_u32_e32 vcc_lo, 0, v2
	v_fmamk_f32 v4, v3, 0x3e000000, v4
	v_cndmask_b32_e32 v2, v4, v3, vcc_lo
	v_cndmask_b32_e64 v3, v5, -9, vcc_lo
	v_ldexp_f32 v2, v2, v3
	v_mul_f32_e32 v2, 0.5, v2
.LBB37_5:
	s_or_b32 exec_lo, exec_lo, s4
	global_load_ubyte v3, v0, s[8:9] offset:4
	s_getpc_b64 s[4:5]
	s_add_u32 s4, s4, _ZL13kvalues_mxfp4@rel32@lo+4
	s_addc_u32 s5, s5, _ZL13kvalues_mxfp4@rel32@hi+12
	v_and_b32_e32 v0, 7, v0
	v_lshlrev_b32_e32 v1, 6, v1
	s_lshl_b64 s[0:1], s[0:1], 2
	s_waitcnt lgkmcnt(0)
	s_add_u32 s0, s2, s0
	s_addc_u32 s1, s3, s1
	v_lshlrev_b32_e32 v0, 2, v0
	v_add_co_u32 v1, s0, s0, v1
	v_add_co_ci_u32_e64 v5, null, s1, 0, s0
	v_add_co_u32 v0, vcc_lo, v1, v0
	v_add_co_ci_u32_e64 v1, null, 0, v5, vcc_lo
	s_waitcnt vmcnt(0)
	v_and_b32_e32 v4, 15, v3
	v_lshrrev_b32_e32 v3, 4, v3
	s_clause 0x1
	global_load_sbyte v4, v4, s[4:5]
	global_load_sbyte v3, v3, s[4:5]
	s_waitcnt vmcnt(1)
	v_cvt_f32_i32_e32 v4, v4
	s_waitcnt vmcnt(0)
	v_cvt_f32_i32_e32 v3, v3
	v_mul_f32_e32 v4, v2, v4
	v_mul_f32_e32 v2, v2, v3
	global_store_dword v[0:1], v4, off
	global_store_dword v[0:1], v2, off offset:32
.LBB37_6:
	s_endpgm
.LBB37_7:
	v_cmp_ne_u16_e32 vcc_lo, 0x7f, v3
	s_and_b32 s7, vcc_lo, exec_lo
	s_or_saveexec_b32 s6, s2
	s_load_dwordx2 s[2:3], s[4:5], 0x8
	s_xor_b32 exec_lo, exec_lo, s6
	s_cbranch_execz .LBB37_3
.LBB37_8:
	v_cmp_ne_u16_e32 vcc_lo, 0, v3
	s_andn2_b32 s4, s7, exec_lo
	s_and_b32 s5, vcc_lo, exec_lo
	s_or_b32 s7, s4, s5
	s_or_b32 exec_lo, exec_lo, s6
	v_mov_b32_e32 v2, 0
	s_and_saveexec_b32 s4, s7
	s_cbranch_execnz .LBB37_4
	s_branch .LBB37_5
	.section	.rodata,"a",@progbits
	.p2align	6, 0x0
	.amdhsa_kernel _ZL22dequantize_block_nvfp4IfEvPKvPT_l
		.amdhsa_group_segment_fixed_size 0
		.amdhsa_private_segment_fixed_size 0
		.amdhsa_kernarg_size 24
		.amdhsa_user_sgpr_count 6
		.amdhsa_user_sgpr_private_segment_buffer 1
		.amdhsa_user_sgpr_dispatch_ptr 0
		.amdhsa_user_sgpr_queue_ptr 0
		.amdhsa_user_sgpr_kernarg_segment_ptr 1
		.amdhsa_user_sgpr_dispatch_id 0
		.amdhsa_user_sgpr_flat_scratch_init 0
		.amdhsa_user_sgpr_private_segment_size 0
		.amdhsa_wavefront_size32 1
		.amdhsa_uses_dynamic_stack 0
		.amdhsa_system_sgpr_private_segment_wavefront_offset 0
		.amdhsa_system_sgpr_workgroup_id_x 1
		.amdhsa_system_sgpr_workgroup_id_y 0
		.amdhsa_system_sgpr_workgroup_id_z 0
		.amdhsa_system_sgpr_workgroup_info 0
		.amdhsa_system_vgpr_workitem_id 0
		.amdhsa_next_free_vgpr 6
		.amdhsa_next_free_sgpr 10
		.amdhsa_reserve_vcc 1
		.amdhsa_reserve_flat_scratch 0
		.amdhsa_float_round_mode_32 0
		.amdhsa_float_round_mode_16_64 0
		.amdhsa_float_denorm_mode_32 3
		.amdhsa_float_denorm_mode_16_64 3
		.amdhsa_dx10_clamp 1
		.amdhsa_ieee_mode 1
		.amdhsa_fp16_overflow 0
		.amdhsa_workgroup_processor_mode 1
		.amdhsa_memory_ordered 1
		.amdhsa_forward_progress 1
		.amdhsa_shared_vgpr_count 0
		.amdhsa_exception_fp_ieee_invalid_op 0
		.amdhsa_exception_fp_denorm_src 0
		.amdhsa_exception_fp_ieee_div_zero 0
		.amdhsa_exception_fp_ieee_overflow 0
		.amdhsa_exception_fp_ieee_underflow 0
		.amdhsa_exception_fp_ieee_inexact 0
		.amdhsa_exception_int_div_zero 0
	.end_amdhsa_kernel
	.section	.text._ZL22dequantize_block_nvfp4IfEvPKvPT_l,"axG",@progbits,_ZL22dequantize_block_nvfp4IfEvPKvPT_l,comdat
.Lfunc_end37:
	.size	_ZL22dequantize_block_nvfp4IfEvPKvPT_l, .Lfunc_end37-_ZL22dequantize_block_nvfp4IfEvPKvPT_l
                                        ; -- End function
	.set _ZL22dequantize_block_nvfp4IfEvPKvPT_l.num_vgpr, 6
	.set _ZL22dequantize_block_nvfp4IfEvPKvPT_l.num_agpr, 0
	.set _ZL22dequantize_block_nvfp4IfEvPKvPT_l.numbered_sgpr, 10
	.set _ZL22dequantize_block_nvfp4IfEvPKvPT_l.num_named_barrier, 0
	.set _ZL22dequantize_block_nvfp4IfEvPKvPT_l.private_seg_size, 0
	.set _ZL22dequantize_block_nvfp4IfEvPKvPT_l.uses_vcc, 1
	.set _ZL22dequantize_block_nvfp4IfEvPKvPT_l.uses_flat_scratch, 0
	.set _ZL22dequantize_block_nvfp4IfEvPKvPT_l.has_dyn_sized_stack, 0
	.set _ZL22dequantize_block_nvfp4IfEvPKvPT_l.has_recursion, 0
	.set _ZL22dequantize_block_nvfp4IfEvPKvPT_l.has_indirect_call, 0
	.section	.AMDGPU.csdata,"",@progbits
; Kernel info:
; codeLenInByte = 440
; TotalNumSgprs: 12
; NumVgprs: 6
; ScratchSize: 0
; MemoryBound: 0
; FloatMode: 240
; IeeeMode: 1
; LDSByteSize: 0 bytes/workgroup (compile time only)
; SGPRBlocks: 0
; VGPRBlocks: 0
; NumSGPRsForWavesPerEU: 12
; NumVGPRsForWavesPerEU: 6
; Occupancy: 16
; WaveLimiterHint : 0
; COMPUTE_PGM_RSRC2:SCRATCH_EN: 0
; COMPUTE_PGM_RSRC2:USER_SGPR: 6
; COMPUTE_PGM_RSRC2:TRAP_HANDLER: 0
; COMPUTE_PGM_RSRC2:TGID_X_EN: 1
; COMPUTE_PGM_RSRC2:TGID_Y_EN: 0
; COMPUTE_PGM_RSRC2:TGID_Z_EN: 0
; COMPUTE_PGM_RSRC2:TIDIG_COMP_CNT: 0
	.section	.text._ZL13convert_unaryIf6__halfEvPKvPT0_lll15HIP_vector_typeIjLj3EElll,"axG",@progbits,_ZL13convert_unaryIf6__halfEvPKvPT0_lll15HIP_vector_typeIjLj3EElll,comdat
	.globl	_ZL13convert_unaryIf6__halfEvPKvPT0_lll15HIP_vector_typeIjLj3EElll ; -- Begin function _ZL13convert_unaryIf6__halfEvPKvPT0_lll15HIP_vector_typeIjLj3EElll
	.p2align	8
	.type	_ZL13convert_unaryIf6__halfEvPKvPT0_lll15HIP_vector_typeIjLj3EElll,@function
_ZL13convert_unaryIf6__halfEvPKvPT0_lll15HIP_vector_typeIjLj3EElll: ; @_ZL13convert_unaryIf6__halfEvPKvPT0_lll15HIP_vector_typeIjLj3EElll
; %bb.0:
	s_mov_b32 s10, s7
	s_clause 0x1
	s_load_dword s7, s[4:5], 0x5c
	s_load_dwordx4 s[0:3], s[4:5], 0x10
	v_mov_b32_e32 v1, 0
	s_add_u32 s24, s4, 0x50
	s_addc_u32 s25, s5, 0
	s_waitcnt lgkmcnt(0)
	s_and_b32 s7, s7, 0xffff
	v_mad_u64_u32 v[2:3], null, s7, s6, v[0:1]
	s_mov_b32 s6, exec_lo
	v_cmpx_gt_i64_e64 s[0:1], v[2:3]
	s_cbranch_execz .LBB38_7
; %bb.1:
	s_load_dwordx2 s[6:7], s[4:5], 0x20
	s_mov_b32 s11, 0
	v_cmp_le_i64_e64 s9, s[2:3], s[10:11]
	s_and_b32 vcc_lo, exec_lo, s9
	s_cbranch_vccnz .LBB38_7
; %bb.2:
	s_clause 0x2
	s_load_dwordx4 s[20:23], s[4:5], 0x0
	s_load_dwordx8 s[12:19], s[4:5], 0x28
	s_load_dwordx2 s[4:5], s[4:5], 0x48
	s_load_dword s30, s[24:25], 0x4
	s_mul_i32 s9, s3, s8
	s_waitcnt lgkmcnt(0)
	s_mul_hi_u32 s15, s2, s8
	s_mul_i32 s26, s2, s8
	s_add_i32 s15, s15, s9
	s_add_u32 s9, s26, s10
	s_addc_u32 s15, s15, 0
	s_mul_hi_u32 s26, s0, s9
	s_mul_i32 s15, s0, s15
	s_mul_i32 s27, s1, s9
	s_add_i32 s15, s26, s15
	s_mul_i32 s26, s0, s9
	s_add_i32 s27, s15, s27
	v_lshlrev_b64 v[0:1], 1, v[2:3]
	s_lshl_b64 s[26:27], s[26:27], 1
	s_mov_b32 s9, s11
	v_lshlrev_b64 v[2:3], 2, v[2:3]
	s_add_u32 s15, s22, s26
	s_addc_u32 s22, s23, s27
	v_add_co_u32 v0, vcc_lo, s15, v0
	v_add_co_ci_u32_e64 v1, null, s22, v1, vcc_lo
	s_mul_i32 s15, s1, s30
	s_mul_hi_u32 s22, s0, s30
	s_mul_i32 s1, s2, s1
	s_mul_hi_u32 s26, s2, s0
	s_add_i32 s23, s22, s15
	s_add_i32 s1, s26, s1
	s_mul_i32 s15, s3, s0
	s_mul_i32 s22, s0, s30
	s_add_i32 s27, s1, s15
	v_cmp_gt_i64_e64 s1, s[6:7], s[8:9]
	s_mul_i32 s26, s2, s0
	s_lshl_b64 s[22:23], s[22:23], 1
	s_lshl_b64 s[26:27], s[26:27], 1
	s_sub_i32 s31, 0, s14
	s_branch .LBB38_4
.LBB38_3:                               ;   in Loop: Header=BB38_4 Depth=1
	s_inst_prefetch 0x2
	s_add_u32 s10, s10, s30
	s_addc_u32 s11, s11, 0
	v_add_co_u32 v0, vcc_lo, v0, s22
	v_cmp_ge_i64_e64 s0, s[10:11], s[2:3]
	v_add_co_ci_u32_e64 v1, null, s23, v1, vcc_lo
	s_and_b32 vcc_lo, exec_lo, s0
	s_cbranch_vccnz .LBB38_7
.LBB38_4:                               ; =>This Loop Header: Depth=1
                                        ;     Child Loop BB38_6 Depth 2
	s_andn2_b32 vcc_lo, exec_lo, s1
	s_cbranch_vccnz .LBB38_3
; %bb.5:                                ;   in Loop: Header=BB38_4 Depth=1
	s_load_dword s33, s[24:25], 0x8
	s_mul_i32 s0, s10, s17
	s_mul_hi_u32 s14, s10, s16
	s_mul_i32 s15, s11, s16
	s_add_i32 s0, s14, s0
	v_mov_b32_e32 v5, v1
	v_mov_b32_e32 v4, v0
	s_mul_i32 s14, s10, s16
	s_add_i32 s15, s0, s15
	s_lshl_b64 s[14:15], s[14:15], 2
	s_waitcnt lgkmcnt(0)
	s_mul_i32 s0, s27, s33
	s_mul_hi_u32 s28, s26, s33
	s_mul_i32 s34, s26, s33
	s_add_i32 s35, s28, s0
	s_mov_b64 s[28:29], s[8:9]
	s_inst_prefetch 0x1
	.p2align	6
.LBB38_6:                               ;   Parent Loop BB38_4 Depth=1
                                        ; =>  This Inner Loop Header: Depth=2
	s_mul_hi_u32 s0, s12, s28
	s_add_i32 s0, s28, s0
	s_lshr_b32 s0, s0, s13
	s_mul_i32 s37, s31, s0
	s_mul_i32 s38, s5, s0
	s_mul_hi_u32 s39, s4, s0
	s_mul_i32 s36, s4, s0
	s_add_i32 s0, s28, s37
	s_add_i32 s37, s39, s38
	s_mul_i32 s39, s19, s0
	s_mul_hi_u32 s40, s18, s0
	s_lshl_b64 s[36:37], s[36:37], 2
	s_mul_i32 s38, s18, s0
	s_add_i32 s39, s40, s39
	s_add_u32 s0, s20, s36
	s_addc_u32 s40, s21, s37
	s_lshl_b64 s[36:37], s[38:39], 2
	s_add_u32 s0, s0, s36
	s_addc_u32 s36, s40, s37
	s_add_u32 s0, s0, s14
	s_addc_u32 s36, s36, s15
	v_add_co_u32 v6, vcc_lo, s0, v2
	v_add_co_ci_u32_e64 v7, null, s36, v3, vcc_lo
	s_add_u32 s28, s28, s33
	s_addc_u32 s29, s29, 0
	global_load_dword v6, v[6:7], off
	v_cmp_ge_i64_e64 s0, s[28:29], s[6:7]
	s_and_b32 vcc_lo, exec_lo, s0
	s_waitcnt vmcnt(0)
	v_cvt_f16_f32_e32 v6, v6
	global_store_short v[4:5], v6, off
	v_add_co_u32 v4, s0, v4, s34
	v_add_co_ci_u32_e64 v5, null, s35, v5, s0
	s_cbranch_vccz .LBB38_6
	s_branch .LBB38_3
.LBB38_7:
	s_endpgm
	.section	.rodata,"a",@progbits
	.p2align	6, 0x0
	.amdhsa_kernel _ZL13convert_unaryIf6__halfEvPKvPT0_lll15HIP_vector_typeIjLj3EElll
		.amdhsa_group_segment_fixed_size 0
		.amdhsa_private_segment_fixed_size 0
		.amdhsa_kernarg_size 336
		.amdhsa_user_sgpr_count 6
		.amdhsa_user_sgpr_private_segment_buffer 1
		.amdhsa_user_sgpr_dispatch_ptr 0
		.amdhsa_user_sgpr_queue_ptr 0
		.amdhsa_user_sgpr_kernarg_segment_ptr 1
		.amdhsa_user_sgpr_dispatch_id 0
		.amdhsa_user_sgpr_flat_scratch_init 0
		.amdhsa_user_sgpr_private_segment_size 0
		.amdhsa_wavefront_size32 1
		.amdhsa_uses_dynamic_stack 0
		.amdhsa_system_sgpr_private_segment_wavefront_offset 0
		.amdhsa_system_sgpr_workgroup_id_x 1
		.amdhsa_system_sgpr_workgroup_id_y 1
		.amdhsa_system_sgpr_workgroup_id_z 1
		.amdhsa_system_sgpr_workgroup_info 0
		.amdhsa_system_vgpr_workitem_id 0
		.amdhsa_next_free_vgpr 8
		.amdhsa_next_free_sgpr 41
		.amdhsa_reserve_vcc 1
		.amdhsa_reserve_flat_scratch 0
		.amdhsa_float_round_mode_32 0
		.amdhsa_float_round_mode_16_64 0
		.amdhsa_float_denorm_mode_32 3
		.amdhsa_float_denorm_mode_16_64 3
		.amdhsa_dx10_clamp 1
		.amdhsa_ieee_mode 1
		.amdhsa_fp16_overflow 0
		.amdhsa_workgroup_processor_mode 1
		.amdhsa_memory_ordered 1
		.amdhsa_forward_progress 1
		.amdhsa_shared_vgpr_count 0
		.amdhsa_exception_fp_ieee_invalid_op 0
		.amdhsa_exception_fp_denorm_src 0
		.amdhsa_exception_fp_ieee_div_zero 0
		.amdhsa_exception_fp_ieee_overflow 0
		.amdhsa_exception_fp_ieee_underflow 0
		.amdhsa_exception_fp_ieee_inexact 0
		.amdhsa_exception_int_div_zero 0
	.end_amdhsa_kernel
	.section	.text._ZL13convert_unaryIf6__halfEvPKvPT0_lll15HIP_vector_typeIjLj3EElll,"axG",@progbits,_ZL13convert_unaryIf6__halfEvPKvPT0_lll15HIP_vector_typeIjLj3EElll,comdat
.Lfunc_end38:
	.size	_ZL13convert_unaryIf6__halfEvPKvPT0_lll15HIP_vector_typeIjLj3EElll, .Lfunc_end38-_ZL13convert_unaryIf6__halfEvPKvPT0_lll15HIP_vector_typeIjLj3EElll
                                        ; -- End function
	.set _ZL13convert_unaryIf6__halfEvPKvPT0_lll15HIP_vector_typeIjLj3EElll.num_vgpr, 8
	.set _ZL13convert_unaryIf6__halfEvPKvPT0_lll15HIP_vector_typeIjLj3EElll.num_agpr, 0
	.set _ZL13convert_unaryIf6__halfEvPKvPT0_lll15HIP_vector_typeIjLj3EElll.numbered_sgpr, 41
	.set _ZL13convert_unaryIf6__halfEvPKvPT0_lll15HIP_vector_typeIjLj3EElll.num_named_barrier, 0
	.set _ZL13convert_unaryIf6__halfEvPKvPT0_lll15HIP_vector_typeIjLj3EElll.private_seg_size, 0
	.set _ZL13convert_unaryIf6__halfEvPKvPT0_lll15HIP_vector_typeIjLj3EElll.uses_vcc, 1
	.set _ZL13convert_unaryIf6__halfEvPKvPT0_lll15HIP_vector_typeIjLj3EElll.uses_flat_scratch, 0
	.set _ZL13convert_unaryIf6__halfEvPKvPT0_lll15HIP_vector_typeIjLj3EElll.has_dyn_sized_stack, 0
	.set _ZL13convert_unaryIf6__halfEvPKvPT0_lll15HIP_vector_typeIjLj3EElll.has_recursion, 0
	.set _ZL13convert_unaryIf6__halfEvPKvPT0_lll15HIP_vector_typeIjLj3EElll.has_indirect_call, 0
	.section	.AMDGPU.csdata,"",@progbits
; Kernel info:
; codeLenInByte = 620
; TotalNumSgprs: 43
; NumVgprs: 8
; ScratchSize: 0
; MemoryBound: 0
; FloatMode: 240
; IeeeMode: 1
; LDSByteSize: 0 bytes/workgroup (compile time only)
; SGPRBlocks: 0
; VGPRBlocks: 0
; NumSGPRsForWavesPerEU: 43
; NumVGPRsForWavesPerEU: 8
; Occupancy: 16
; WaveLimiterHint : 0
; COMPUTE_PGM_RSRC2:SCRATCH_EN: 0
; COMPUTE_PGM_RSRC2:USER_SGPR: 6
; COMPUTE_PGM_RSRC2:TRAP_HANDLER: 0
; COMPUTE_PGM_RSRC2:TGID_X_EN: 1
; COMPUTE_PGM_RSRC2:TGID_Y_EN: 1
; COMPUTE_PGM_RSRC2:TGID_Z_EN: 1
; COMPUTE_PGM_RSRC2:TIDIG_COMP_CNT: 0
	.section	.text._ZL16dequantize_blockILi128ELi1EXadL_ZL15dequantize_q1_0PKvliR15HIP_vector_typeIfLj2EEEE6__halfEvS1_PT2_lllS2_IjLj3EElll,"axG",@progbits,_ZL16dequantize_blockILi128ELi1EXadL_ZL15dequantize_q1_0PKvliR15HIP_vector_typeIfLj2EEEE6__halfEvS1_PT2_lllS2_IjLj3EElll,comdat
	.globl	_ZL16dequantize_blockILi128ELi1EXadL_ZL15dequantize_q1_0PKvliR15HIP_vector_typeIfLj2EEEE6__halfEvS1_PT2_lllS2_IjLj3EElll ; -- Begin function _ZL16dequantize_blockILi128ELi1EXadL_ZL15dequantize_q1_0PKvliR15HIP_vector_typeIfLj2EEEE6__halfEvS1_PT2_lllS2_IjLj3EElll
	.p2align	8
	.type	_ZL16dequantize_blockILi128ELi1EXadL_ZL15dequantize_q1_0PKvliR15HIP_vector_typeIfLj2EEEE6__halfEvS1_PT2_lllS2_IjLj3EElll,@function
_ZL16dequantize_blockILi128ELi1EXadL_ZL15dequantize_q1_0PKvliR15HIP_vector_typeIfLj2EEEE6__halfEvS1_PT2_lllS2_IjLj3EElll: ; @_ZL16dequantize_blockILi128ELi1EXadL_ZL15dequantize_q1_0PKvliR15HIP_vector_typeIfLj2EEEE6__halfEvS1_PT2_lllS2_IjLj3EElll
; %bb.0:
	s_mov_b32 s10, s7
	s_clause 0x1
	s_load_dword s7, s[4:5], 0x5c
	s_load_dwordx4 s[0:3], s[4:5], 0x10
	v_mov_b32_e32 v1, 0
	s_add_u32 s24, s4, 0x50
	s_addc_u32 s25, s5, 0
	s_waitcnt lgkmcnt(0)
	s_and_b32 s9, s7, 0xffff
	v_mad_u64_u32 v[1:2], null, s9, s6, v[0:1]
	s_mov_b32 s9, exec_lo
	v_lshlrev_b64 v[3:4], 1, v[1:2]
	v_cmpx_gt_i64_e64 s[0:1], v[3:4]
	s_cbranch_execz .LBB39_7
; %bb.1:
	s_load_dwordx2 s[26:27], s[4:5], 0x20
	s_mov_b32 s11, 0
	v_cmp_le_i64_e64 s9, s[2:3], s[10:11]
	s_and_b32 vcc_lo, exec_lo, s9
	s_cbranch_vccnz .LBB39_7
; %bb.2:
	s_clause 0x2
	s_load_dwordx4 s[20:23], s[4:5], 0x0
	s_load_dwordx8 s[12:19], s[4:5], 0x28
	s_load_dwordx2 s[4:5], s[4:5], 0x48
	s_mul_i32 s9, s3, s8
	s_waitcnt lgkmcnt(0)
	s_mul_hi_u32 s15, s2, s8
	s_mul_i32 s28, s2, s8
	s_add_i32 s15, s15, s9
	s_add_u32 s28, s28, s10
	s_addc_u32 s9, s15, 0
	v_lshrrev_b64 v[1:2], 6, v[1:2]
	s_mul_i32 s9, s0, s9
	s_mul_i32 s6, s6, s7
	s_mul_hi_u32 s7, s0, s28
	v_add_nc_u16 v0, s6, v0
	s_add_i32 s6, s7, s9
	s_mul_i32 s7, s1, s28
	v_lshlrev_b64 v[4:5], 8, v[1:2]
	s_add_i32 s7, s6, s7
	s_mul_i32 s6, s0, s28
	s_load_dword s28, s[24:25], 0x4
	v_and_b32_e32 v0, 63, v0
	s_lshl_b64 s[6:7], s[6:7], 1
	v_and_b32_e32 v7, 6, v3
	v_add_co_u32 v4, vcc_lo, s6, v4
	v_lshlrev_b32_e32 v6, 2, v0
	v_add_co_ci_u32_e64 v5, null, s7, v5, vcc_lo
	v_bfe_u32 v0, v3, 3, 4
	s_mul_hi_u32 s15, s2, s0
	v_add_co_u32 v4, vcc_lo, v4, v6
	v_add_co_ci_u32_e64 v5, null, 0, v5, vcc_lo
	s_mov_b32 s9, s11
	v_add_co_u32 v3, vcc_lo, s22, v4
	v_add_co_ci_u32_e64 v4, null, s23, v5, vcc_lo
	s_waitcnt lgkmcnt(0)
	s_mul_i32 s6, s1, s28
	s_mul_i32 s1, s2, s1
	v_add_co_u32 v3, vcc_lo, v3, 2
	s_add_i32 s1, s15, s1
	s_mul_i32 s15, s3, s0
	s_mul_hi_u32 s7, s0, s28
	s_add_i32 s23, s1, s15
	v_cmp_gt_i64_e64 s1, s[26:27], s[8:9]
	v_or_b32_e32 v8, 1, v7
	v_add_co_ci_u32_e64 v4, null, 0, v4, vcc_lo
	s_add_i32 s7, s7, s6
	s_mul_i32 s6, s0, s28
	s_mul_i32 s22, s2, s0
	s_lshl_b64 s[6:7], s[6:7], 1
	s_lshl_b64 s[22:23], s[22:23], 1
	s_sub_i32 s29, 0, s14
	s_branch .LBB39_4
.LBB39_3:                               ;   in Loop: Header=BB39_4 Depth=1
	s_add_u32 s10, s10, s28
	s_addc_u32 s11, s11, 0
	v_add_co_u32 v3, vcc_lo, v3, s6
	v_cmp_ge_i64_e64 s0, s[10:11], s[2:3]
	v_add_co_ci_u32_e64 v4, null, s7, v4, vcc_lo
	s_and_b32 vcc_lo, exec_lo, s0
	s_cbranch_vccnz .LBB39_7
.LBB39_4:                               ; =>This Loop Header: Depth=1
                                        ;     Child Loop BB39_6 Depth 2
	s_andn2_b32 vcc_lo, exec_lo, s1
	s_cbranch_vccnz .LBB39_3
; %bb.5:                                ;   in Loop: Header=BB39_4 Depth=1
	s_load_dword s30, s[24:25], 0x8
	s_mul_i32 s0, s10, s17
	s_mul_hi_u32 s14, s10, s16
	s_mul_i32 s15, s11, s16
	s_add_i32 s0, s14, s0
	s_mul_i32 s31, s10, s16
	s_add_i32 s0, s0, s15
	v_mov_b32_e32 v6, v4
	s_mul_hi_u32 s33, s31, 18
	s_mul_i32 s0, s0, 18
	v_mov_b32_e32 v5, v3
	s_add_i32 s33, s33, s0
	s_mul_i32 s31, s31, 18
	s_waitcnt lgkmcnt(0)
	s_mul_i32 s0, s23, s30
	s_mul_hi_u32 s14, s22, s30
	s_mul_i32 s34, s22, s30
	s_add_i32 s35, s14, s0
	s_mov_b64 s[14:15], s[8:9]
.LBB39_6:                               ;   Parent Loop BB39_4 Depth=1
                                        ; =>  This Inner Loop Header: Depth=2
	s_mul_hi_u32 s0, s12, s14
	s_add_i32 s0, s14, s0
	s_lshr_b32 s0, s0, s13
	s_mul_i32 s36, s29, s0
	s_mul_i32 s37, s5, s0
	s_mul_hi_u32 s38, s4, s0
	s_add_i32 s36, s14, s36
	s_mul_i32 s0, s4, s0
	s_add_i32 s37, s38, s37
	s_mul_i32 s39, s19, s36
	s_mul_hi_u32 s40, s18, s36
	s_mul_hi_u32 s38, s0, 18
	s_mul_i32 s36, s18, s36
	s_mul_i32 s37, s37, 18
	s_add_i32 s39, s40, s39
	s_mul_i32 s0, s0, 18
	s_add_i32 s38, s38, s37
	s_mul_hi_u32 s37, s36, 18
	s_mul_i32 s39, s39, 18
	s_mul_i32 s36, s36, 18
	s_add_u32 s0, s20, s0
	s_addc_u32 s38, s21, s38
	s_add_i32 s37, s37, s39
	s_add_u32 s0, s0, s36
	s_addc_u32 s37, s38, s37
	s_add_u32 s36, s0, s31
	s_addc_u32 s37, s37, s33
	s_add_u32 s14, s14, s30
	v_mad_u64_u32 v[9:10], null, v1, 18, s[36:37]
	s_addc_u32 s15, s15, 0
	v_cmp_ge_i64_e64 s0, s[14:15], s[26:27]
	v_mad_u64_u32 v[10:11], null, v2, 18, v[10:11]
	v_add_co_u32 v11, vcc_lo, v9, v0
	v_add_co_ci_u32_e64 v12, null, 0, v10, vcc_lo
	s_clause 0x1
	global_load_ubyte v11, v[11:12], off offset:2
	global_load_ushort v9, v[9:10], off
	s_and_b32 vcc_lo, exec_lo, s0
	s_waitcnt vmcnt(1)
	v_lshrrev_b32_e32 v10, v7, v11
	v_lshrrev_b32_e32 v11, v8, v11
	v_lshlrev_b32_e32 v10, 1, v10
	v_lshlrev_b32_e32 v11, 1, v11
	v_and_b32_e32 v10, 2, v10
	v_and_b32_e32 v11, 2, v11
	v_add_nc_u32_e32 v10, -1, v10
	v_add_nc_u32_e32 v11, -1, v11
	v_cvt_f32_i32_e32 v10, v10
	v_cvt_f32_i32_e32 v11, v11
	s_waitcnt vmcnt(0)
	v_fma_mixlo_f16 v10, v9, v10, 0 op_sel_hi:[1,0,0]
	v_fma_mixhi_f16 v10, v9, v11, 0 op_sel_hi:[1,0,0]
	global_store_dword v[5:6], v10, off offset:-2
	v_add_co_u32 v5, s0, v5, s34
	v_add_co_ci_u32_e64 v6, null, s35, v6, s0
	s_cbranch_vccz .LBB39_6
	s_branch .LBB39_3
.LBB39_7:
	s_endpgm
	.section	.rodata,"a",@progbits
	.p2align	6, 0x0
	.amdhsa_kernel _ZL16dequantize_blockILi128ELi1EXadL_ZL15dequantize_q1_0PKvliR15HIP_vector_typeIfLj2EEEE6__halfEvS1_PT2_lllS2_IjLj3EElll
		.amdhsa_group_segment_fixed_size 0
		.amdhsa_private_segment_fixed_size 0
		.amdhsa_kernarg_size 336
		.amdhsa_user_sgpr_count 6
		.amdhsa_user_sgpr_private_segment_buffer 1
		.amdhsa_user_sgpr_dispatch_ptr 0
		.amdhsa_user_sgpr_queue_ptr 0
		.amdhsa_user_sgpr_kernarg_segment_ptr 1
		.amdhsa_user_sgpr_dispatch_id 0
		.amdhsa_user_sgpr_flat_scratch_init 0
		.amdhsa_user_sgpr_private_segment_size 0
		.amdhsa_wavefront_size32 1
		.amdhsa_uses_dynamic_stack 0
		.amdhsa_system_sgpr_private_segment_wavefront_offset 0
		.amdhsa_system_sgpr_workgroup_id_x 1
		.amdhsa_system_sgpr_workgroup_id_y 1
		.amdhsa_system_sgpr_workgroup_id_z 1
		.amdhsa_system_sgpr_workgroup_info 0
		.amdhsa_system_vgpr_workitem_id 0
		.amdhsa_next_free_vgpr 13
		.amdhsa_next_free_sgpr 41
		.amdhsa_reserve_vcc 1
		.amdhsa_reserve_flat_scratch 0
		.amdhsa_float_round_mode_32 0
		.amdhsa_float_round_mode_16_64 0
		.amdhsa_float_denorm_mode_32 3
		.amdhsa_float_denorm_mode_16_64 3
		.amdhsa_dx10_clamp 1
		.amdhsa_ieee_mode 1
		.amdhsa_fp16_overflow 0
		.amdhsa_workgroup_processor_mode 1
		.amdhsa_memory_ordered 1
		.amdhsa_forward_progress 1
		.amdhsa_shared_vgpr_count 0
		.amdhsa_exception_fp_ieee_invalid_op 0
		.amdhsa_exception_fp_denorm_src 0
		.amdhsa_exception_fp_ieee_div_zero 0
		.amdhsa_exception_fp_ieee_overflow 0
		.amdhsa_exception_fp_ieee_underflow 0
		.amdhsa_exception_fp_ieee_inexact 0
		.amdhsa_exception_int_div_zero 0
	.end_amdhsa_kernel
	.section	.text._ZL16dequantize_blockILi128ELi1EXadL_ZL15dequantize_q1_0PKvliR15HIP_vector_typeIfLj2EEEE6__halfEvS1_PT2_lllS2_IjLj3EElll,"axG",@progbits,_ZL16dequantize_blockILi128ELi1EXadL_ZL15dequantize_q1_0PKvliR15HIP_vector_typeIfLj2EEEE6__halfEvS1_PT2_lllS2_IjLj3EElll,comdat
.Lfunc_end39:
	.size	_ZL16dequantize_blockILi128ELi1EXadL_ZL15dequantize_q1_0PKvliR15HIP_vector_typeIfLj2EEEE6__halfEvS1_PT2_lllS2_IjLj3EElll, .Lfunc_end39-_ZL16dequantize_blockILi128ELi1EXadL_ZL15dequantize_q1_0PKvliR15HIP_vector_typeIfLj2EEEE6__halfEvS1_PT2_lllS2_IjLj3EElll
                                        ; -- End function
	.set _ZL16dequantize_blockILi128ELi1EXadL_ZL15dequantize_q1_0PKvliR15HIP_vector_typeIfLj2EEEE6__halfEvS1_PT2_lllS2_IjLj3EElll.num_vgpr, 13
	.set _ZL16dequantize_blockILi128ELi1EXadL_ZL15dequantize_q1_0PKvliR15HIP_vector_typeIfLj2EEEE6__halfEvS1_PT2_lllS2_IjLj3EElll.num_agpr, 0
	.set _ZL16dequantize_blockILi128ELi1EXadL_ZL15dequantize_q1_0PKvliR15HIP_vector_typeIfLj2EEEE6__halfEvS1_PT2_lllS2_IjLj3EElll.numbered_sgpr, 41
	.set _ZL16dequantize_blockILi128ELi1EXadL_ZL15dequantize_q1_0PKvliR15HIP_vector_typeIfLj2EEEE6__halfEvS1_PT2_lllS2_IjLj3EElll.num_named_barrier, 0
	.set _ZL16dequantize_blockILi128ELi1EXadL_ZL15dequantize_q1_0PKvliR15HIP_vector_typeIfLj2EEEE6__halfEvS1_PT2_lllS2_IjLj3EElll.private_seg_size, 0
	.set _ZL16dequantize_blockILi128ELi1EXadL_ZL15dequantize_q1_0PKvliR15HIP_vector_typeIfLj2EEEE6__halfEvS1_PT2_lllS2_IjLj3EElll.uses_vcc, 1
	.set _ZL16dequantize_blockILi128ELi1EXadL_ZL15dequantize_q1_0PKvliR15HIP_vector_typeIfLj2EEEE6__halfEvS1_PT2_lllS2_IjLj3EElll.uses_flat_scratch, 0
	.set _ZL16dequantize_blockILi128ELi1EXadL_ZL15dequantize_q1_0PKvliR15HIP_vector_typeIfLj2EEEE6__halfEvS1_PT2_lllS2_IjLj3EElll.has_dyn_sized_stack, 0
	.set _ZL16dequantize_blockILi128ELi1EXadL_ZL15dequantize_q1_0PKvliR15HIP_vector_typeIfLj2EEEE6__halfEvS1_PT2_lllS2_IjLj3EElll.has_recursion, 0
	.set _ZL16dequantize_blockILi128ELi1EXadL_ZL15dequantize_q1_0PKvliR15HIP_vector_typeIfLj2EEEE6__halfEvS1_PT2_lllS2_IjLj3EElll.has_indirect_call, 0
	.section	.AMDGPU.csdata,"",@progbits
; Kernel info:
; codeLenInByte = 800
; TotalNumSgprs: 43
; NumVgprs: 13
; ScratchSize: 0
; MemoryBound: 0
; FloatMode: 240
; IeeeMode: 1
; LDSByteSize: 0 bytes/workgroup (compile time only)
; SGPRBlocks: 0
; VGPRBlocks: 1
; NumSGPRsForWavesPerEU: 43
; NumVGPRsForWavesPerEU: 13
; Occupancy: 16
; WaveLimiterHint : 0
; COMPUTE_PGM_RSRC2:SCRATCH_EN: 0
; COMPUTE_PGM_RSRC2:USER_SGPR: 6
; COMPUTE_PGM_RSRC2:TRAP_HANDLER: 0
; COMPUTE_PGM_RSRC2:TGID_X_EN: 1
; COMPUTE_PGM_RSRC2:TGID_Y_EN: 1
; COMPUTE_PGM_RSRC2:TGID_Z_EN: 1
; COMPUTE_PGM_RSRC2:TIDIG_COMP_CNT: 0
	.section	.text._ZL16dequantize_blockILi32ELi2EXadL_ZL15dequantize_q4_0PKvliR15HIP_vector_typeIfLj2EEEE6__halfEvS1_PT2_lllS2_IjLj3EElll,"axG",@progbits,_ZL16dequantize_blockILi32ELi2EXadL_ZL15dequantize_q4_0PKvliR15HIP_vector_typeIfLj2EEEE6__halfEvS1_PT2_lllS2_IjLj3EElll,comdat
	.globl	_ZL16dequantize_blockILi32ELi2EXadL_ZL15dequantize_q4_0PKvliR15HIP_vector_typeIfLj2EEEE6__halfEvS1_PT2_lllS2_IjLj3EElll ; -- Begin function _ZL16dequantize_blockILi32ELi2EXadL_ZL15dequantize_q4_0PKvliR15HIP_vector_typeIfLj2EEEE6__halfEvS1_PT2_lllS2_IjLj3EElll
	.p2align	8
	.type	_ZL16dequantize_blockILi32ELi2EXadL_ZL15dequantize_q4_0PKvliR15HIP_vector_typeIfLj2EEEE6__halfEvS1_PT2_lllS2_IjLj3EElll,@function
_ZL16dequantize_blockILi32ELi2EXadL_ZL15dequantize_q4_0PKvliR15HIP_vector_typeIfLj2EEEE6__halfEvS1_PT2_lllS2_IjLj3EElll: ; @_ZL16dequantize_blockILi32ELi2EXadL_ZL15dequantize_q4_0PKvliR15HIP_vector_typeIfLj2EEEE6__halfEvS1_PT2_lllS2_IjLj3EElll
; %bb.0:
	s_mov_b32 s10, s7
	s_clause 0x1
	s_load_dword s7, s[4:5], 0x5c
	s_load_dwordx4 s[0:3], s[4:5], 0x10
	v_mov_b32_e32 v1, 0
	s_add_u32 s24, s4, 0x50
	s_addc_u32 s25, s5, 0
	s_waitcnt lgkmcnt(0)
	s_and_b32 s7, s7, 0xffff
	v_mad_u64_u32 v[2:3], null, s7, s6, v[0:1]
	s_mov_b32 s6, exec_lo
	v_lshlrev_b64 v[0:1], 1, v[2:3]
	v_cmpx_gt_i64_e64 s[0:1], v[0:1]
	s_cbranch_execz .LBB40_7
; %bb.1:
	s_load_dwordx2 s[6:7], s[4:5], 0x20
	s_mov_b32 s11, 0
	v_cmp_le_i64_e64 s9, s[2:3], s[10:11]
	s_and_b32 vcc_lo, exec_lo, s9
	s_cbranch_vccnz .LBB40_7
; %bb.2:
	s_mul_i32 s9, s3, s8
	s_mul_hi_u32 s12, s2, s8
	s_mul_i32 s13, s2, s8
	s_add_i32 s12, s12, s9
	v_lshrrev_b64 v[0:1], 4, v[2:3]
	s_add_u32 s9, s13, s10
	s_addc_u32 s12, s12, 0
	s_mul_hi_u32 s13, s0, s9
	s_mul_i32 s12, s0, s12
	s_load_dwordx4 s[20:23], s[4:5], 0x0
	s_add_i32 s12, s13, s12
	s_mul_i32 s13, s1, s9
	v_and_b32_e32 v6, 15, v2
	v_lshlrev_b64 v[2:3], 6, v[0:1]
	s_load_dword s28, s[24:25], 0x4
	s_add_i32 s13, s12, s13
	s_mul_i32 s12, s0, s9
	v_lshlrev_b32_e32 v4, 1, v6
	s_lshl_b64 s[12:13], s[12:13], 1
	s_mul_hi_u32 s26, s2, s0
	v_add_co_u32 v2, vcc_lo, s12, v2
	v_add_co_ci_u32_e64 v3, null, s13, v3, vcc_lo
	s_clause 0x1
	s_load_dwordx8 s[12:19], s[4:5], 0x28
	s_load_dwordx2 s[4:5], s[4:5], 0x48
	v_add_co_u32 v2, vcc_lo, v2, v4
	v_add_co_ci_u32_e64 v3, null, 0, v3, vcc_lo
	s_mov_b32 s9, s11
	s_waitcnt lgkmcnt(0)
	v_add_co_u32 v2, vcc_lo, s22, v2
	v_add_co_ci_u32_e64 v3, null, s23, v3, vcc_lo
	s_mul_i32 s15, s1, s28
	s_mul_hi_u32 s22, s0, s28
	s_mul_i32 s1, s2, s1
	s_add_i32 s23, s22, s15
	s_add_i32 s1, s26, s1
	s_mul_i32 s15, s3, s0
	v_add_co_u32 v2, vcc_lo, v2, 32
	s_add_i32 s27, s1, s15
	v_cmp_gt_i64_e64 s1, s[6:7], s[8:9]
	v_add_co_ci_u32_e64 v3, null, 0, v3, vcc_lo
	s_mul_i32 s22, s0, s28
	s_mul_i32 s26, s2, s0
	s_lshl_b64 s[22:23], s[22:23], 1
	s_lshl_b64 s[26:27], s[26:27], 1
	s_sub_i32 s29, 0, s14
	s_branch .LBB40_4
.LBB40_3:                               ;   in Loop: Header=BB40_4 Depth=1
	s_add_u32 s10, s10, s28
	s_addc_u32 s11, s11, 0
	v_add_co_u32 v2, vcc_lo, v2, s22
	v_cmp_ge_i64_e64 s0, s[10:11], s[2:3]
	v_add_co_ci_u32_e64 v3, null, s23, v3, vcc_lo
	s_and_b32 vcc_lo, exec_lo, s0
	s_cbranch_vccnz .LBB40_7
.LBB40_4:                               ; =>This Loop Header: Depth=1
                                        ;     Child Loop BB40_6 Depth 2
	s_andn2_b32 vcc_lo, exec_lo, s1
	s_cbranch_vccnz .LBB40_3
; %bb.5:                                ;   in Loop: Header=BB40_4 Depth=1
	s_load_dword s30, s[24:25], 0x8
	s_mul_i32 s0, s10, s17
	s_mul_hi_u32 s14, s10, s16
	s_mul_i32 s15, s11, s16
	s_add_i32 s0, s14, s0
	s_mul_i32 s31, s10, s16
	s_add_i32 s0, s0, s15
	v_mov_b32_e32 v5, v3
	s_mul_hi_u32 s33, s31, 18
	s_mul_i32 s0, s0, 18
	v_mov_b32_e32 v4, v2
	s_add_i32 s33, s33, s0
	s_mul_i32 s31, s31, 18
	s_waitcnt lgkmcnt(0)
	s_mul_i32 s0, s27, s30
	s_mul_hi_u32 s14, s26, s30
	s_mul_i32 s34, s26, s30
	s_add_i32 s35, s14, s0
	s_mov_b64 s[14:15], s[8:9]
.LBB40_6:                               ;   Parent Loop BB40_4 Depth=1
                                        ; =>  This Inner Loop Header: Depth=2
	s_mul_hi_u32 s0, s12, s14
	s_add_i32 s0, s14, s0
	s_lshr_b32 s0, s0, s13
	s_mul_i32 s36, s29, s0
	s_mul_i32 s37, s5, s0
	s_mul_hi_u32 s38, s4, s0
	s_add_i32 s36, s14, s36
	s_mul_i32 s0, s4, s0
	s_add_i32 s37, s38, s37
	s_mul_i32 s39, s19, s36
	s_mul_hi_u32 s40, s18, s36
	s_mul_hi_u32 s38, s0, 18
	s_mul_i32 s36, s18, s36
	s_mul_i32 s37, s37, 18
	s_add_i32 s39, s40, s39
	s_mul_i32 s0, s0, 18
	s_add_i32 s38, s38, s37
	s_mul_hi_u32 s37, s36, 18
	s_mul_i32 s39, s39, 18
	s_mul_i32 s36, s36, 18
	s_add_u32 s0, s20, s0
	s_addc_u32 s38, s21, s38
	s_add_i32 s37, s37, s39
	s_add_u32 s0, s0, s36
	s_addc_u32 s37, s38, s37
	s_add_u32 s36, s0, s31
	s_addc_u32 s37, s37, s33
	s_add_u32 s14, s14, s30
	v_mad_u64_u32 v[7:8], null, v0, 18, s[36:37]
	s_addc_u32 s15, s15, 0
	v_cmp_ge_i64_e64 s0, s[14:15], s[6:7]
	v_mad_u64_u32 v[8:9], null, v1, 18, v[8:9]
	v_add_co_u32 v9, vcc_lo, v7, v6
	v_add_co_ci_u32_e64 v10, null, 0, v8, vcc_lo
	s_clause 0x1
	global_load_ubyte v9, v[9:10], off offset:2
	global_load_ushort v7, v[7:8], off
	s_and_b32 vcc_lo, exec_lo, s0
	s_waitcnt vmcnt(1)
	v_and_b32_e32 v8, 15, v9
	v_lshrrev_b32_e32 v9, 4, v9
	v_add_nc_u32_e32 v8, -8, v8
	v_add_nc_u32_e32 v9, -8, v9
	v_cvt_f32_i32_e32 v8, v8
	v_cvt_f32_i32_e32 v9, v9
	s_waitcnt vmcnt(0)
	v_fma_mixlo_f16 v8, v7, v8, 0 op_sel_hi:[1,0,0]
	v_fma_mixlo_f16 v7, v7, v9, 0 op_sel_hi:[1,0,0]
	global_store_short v[4:5], v8, off offset:-32
	global_store_short v[4:5], v7, off
	v_add_co_u32 v4, s0, v4, s34
	v_add_co_ci_u32_e64 v5, null, s35, v5, s0
	s_cbranch_vccz .LBB40_6
	s_branch .LBB40_3
.LBB40_7:
	s_endpgm
	.section	.rodata,"a",@progbits
	.p2align	6, 0x0
	.amdhsa_kernel _ZL16dequantize_blockILi32ELi2EXadL_ZL15dequantize_q4_0PKvliR15HIP_vector_typeIfLj2EEEE6__halfEvS1_PT2_lllS2_IjLj3EElll
		.amdhsa_group_segment_fixed_size 0
		.amdhsa_private_segment_fixed_size 0
		.amdhsa_kernarg_size 336
		.amdhsa_user_sgpr_count 6
		.amdhsa_user_sgpr_private_segment_buffer 1
		.amdhsa_user_sgpr_dispatch_ptr 0
		.amdhsa_user_sgpr_queue_ptr 0
		.amdhsa_user_sgpr_kernarg_segment_ptr 1
		.amdhsa_user_sgpr_dispatch_id 0
		.amdhsa_user_sgpr_flat_scratch_init 0
		.amdhsa_user_sgpr_private_segment_size 0
		.amdhsa_wavefront_size32 1
		.amdhsa_uses_dynamic_stack 0
		.amdhsa_system_sgpr_private_segment_wavefront_offset 0
		.amdhsa_system_sgpr_workgroup_id_x 1
		.amdhsa_system_sgpr_workgroup_id_y 1
		.amdhsa_system_sgpr_workgroup_id_z 1
		.amdhsa_system_sgpr_workgroup_info 0
		.amdhsa_system_vgpr_workitem_id 0
		.amdhsa_next_free_vgpr 11
		.amdhsa_next_free_sgpr 41
		.amdhsa_reserve_vcc 1
		.amdhsa_reserve_flat_scratch 0
		.amdhsa_float_round_mode_32 0
		.amdhsa_float_round_mode_16_64 0
		.amdhsa_float_denorm_mode_32 3
		.amdhsa_float_denorm_mode_16_64 3
		.amdhsa_dx10_clamp 1
		.amdhsa_ieee_mode 1
		.amdhsa_fp16_overflow 0
		.amdhsa_workgroup_processor_mode 1
		.amdhsa_memory_ordered 1
		.amdhsa_forward_progress 1
		.amdhsa_shared_vgpr_count 0
		.amdhsa_exception_fp_ieee_invalid_op 0
		.amdhsa_exception_fp_denorm_src 0
		.amdhsa_exception_fp_ieee_div_zero 0
		.amdhsa_exception_fp_ieee_overflow 0
		.amdhsa_exception_fp_ieee_underflow 0
		.amdhsa_exception_fp_ieee_inexact 0
		.amdhsa_exception_int_div_zero 0
	.end_amdhsa_kernel
	.section	.text._ZL16dequantize_blockILi32ELi2EXadL_ZL15dequantize_q4_0PKvliR15HIP_vector_typeIfLj2EEEE6__halfEvS1_PT2_lllS2_IjLj3EElll,"axG",@progbits,_ZL16dequantize_blockILi32ELi2EXadL_ZL15dequantize_q4_0PKvliR15HIP_vector_typeIfLj2EEEE6__halfEvS1_PT2_lllS2_IjLj3EElll,comdat
.Lfunc_end40:
	.size	_ZL16dequantize_blockILi32ELi2EXadL_ZL15dequantize_q4_0PKvliR15HIP_vector_typeIfLj2EEEE6__halfEvS1_PT2_lllS2_IjLj3EElll, .Lfunc_end40-_ZL16dequantize_blockILi32ELi2EXadL_ZL15dequantize_q4_0PKvliR15HIP_vector_typeIfLj2EEEE6__halfEvS1_PT2_lllS2_IjLj3EElll
                                        ; -- End function
	.set _ZL16dequantize_blockILi32ELi2EXadL_ZL15dequantize_q4_0PKvliR15HIP_vector_typeIfLj2EEEE6__halfEvS1_PT2_lllS2_IjLj3EElll.num_vgpr, 11
	.set _ZL16dequantize_blockILi32ELi2EXadL_ZL15dequantize_q4_0PKvliR15HIP_vector_typeIfLj2EEEE6__halfEvS1_PT2_lllS2_IjLj3EElll.num_agpr, 0
	.set _ZL16dequantize_blockILi32ELi2EXadL_ZL15dequantize_q4_0PKvliR15HIP_vector_typeIfLj2EEEE6__halfEvS1_PT2_lllS2_IjLj3EElll.numbered_sgpr, 41
	.set _ZL16dequantize_blockILi32ELi2EXadL_ZL15dequantize_q4_0PKvliR15HIP_vector_typeIfLj2EEEE6__halfEvS1_PT2_lllS2_IjLj3EElll.num_named_barrier, 0
	.set _ZL16dequantize_blockILi32ELi2EXadL_ZL15dequantize_q4_0PKvliR15HIP_vector_typeIfLj2EEEE6__halfEvS1_PT2_lllS2_IjLj3EElll.private_seg_size, 0
	.set _ZL16dequantize_blockILi32ELi2EXadL_ZL15dequantize_q4_0PKvliR15HIP_vector_typeIfLj2EEEE6__halfEvS1_PT2_lllS2_IjLj3EElll.uses_vcc, 1
	.set _ZL16dequantize_blockILi32ELi2EXadL_ZL15dequantize_q4_0PKvliR15HIP_vector_typeIfLj2EEEE6__halfEvS1_PT2_lllS2_IjLj3EElll.uses_flat_scratch, 0
	.set _ZL16dequantize_blockILi32ELi2EXadL_ZL15dequantize_q4_0PKvliR15HIP_vector_typeIfLj2EEEE6__halfEvS1_PT2_lllS2_IjLj3EElll.has_dyn_sized_stack, 0
	.set _ZL16dequantize_blockILi32ELi2EXadL_ZL15dequantize_q4_0PKvliR15HIP_vector_typeIfLj2EEEE6__halfEvS1_PT2_lllS2_IjLj3EElll.has_recursion, 0
	.set _ZL16dequantize_blockILi32ELi2EXadL_ZL15dequantize_q4_0PKvliR15HIP_vector_typeIfLj2EEEE6__halfEvS1_PT2_lllS2_IjLj3EElll.has_indirect_call, 0
	.section	.AMDGPU.csdata,"",@progbits
; Kernel info:
; codeLenInByte = 760
; TotalNumSgprs: 43
; NumVgprs: 11
; ScratchSize: 0
; MemoryBound: 0
; FloatMode: 240
; IeeeMode: 1
; LDSByteSize: 0 bytes/workgroup (compile time only)
; SGPRBlocks: 0
; VGPRBlocks: 1
; NumSGPRsForWavesPerEU: 43
; NumVGPRsForWavesPerEU: 11
; Occupancy: 16
; WaveLimiterHint : 0
; COMPUTE_PGM_RSRC2:SCRATCH_EN: 0
; COMPUTE_PGM_RSRC2:USER_SGPR: 6
; COMPUTE_PGM_RSRC2:TRAP_HANDLER: 0
; COMPUTE_PGM_RSRC2:TGID_X_EN: 1
; COMPUTE_PGM_RSRC2:TGID_Y_EN: 1
; COMPUTE_PGM_RSRC2:TGID_Z_EN: 1
; COMPUTE_PGM_RSRC2:TIDIG_COMP_CNT: 0
	.section	.text._ZL16dequantize_blockILi32ELi2EXadL_ZL15dequantize_q4_1PKvliR15HIP_vector_typeIfLj2EEEE6__halfEvS1_PT2_lllS2_IjLj3EElll,"axG",@progbits,_ZL16dequantize_blockILi32ELi2EXadL_ZL15dequantize_q4_1PKvliR15HIP_vector_typeIfLj2EEEE6__halfEvS1_PT2_lllS2_IjLj3EElll,comdat
	.globl	_ZL16dequantize_blockILi32ELi2EXadL_ZL15dequantize_q4_1PKvliR15HIP_vector_typeIfLj2EEEE6__halfEvS1_PT2_lllS2_IjLj3EElll ; -- Begin function _ZL16dequantize_blockILi32ELi2EXadL_ZL15dequantize_q4_1PKvliR15HIP_vector_typeIfLj2EEEE6__halfEvS1_PT2_lllS2_IjLj3EElll
	.p2align	8
	.type	_ZL16dequantize_blockILi32ELi2EXadL_ZL15dequantize_q4_1PKvliR15HIP_vector_typeIfLj2EEEE6__halfEvS1_PT2_lllS2_IjLj3EElll,@function
_ZL16dequantize_blockILi32ELi2EXadL_ZL15dequantize_q4_1PKvliR15HIP_vector_typeIfLj2EEEE6__halfEvS1_PT2_lllS2_IjLj3EElll: ; @_ZL16dequantize_blockILi32ELi2EXadL_ZL15dequantize_q4_1PKvliR15HIP_vector_typeIfLj2EEEE6__halfEvS1_PT2_lllS2_IjLj3EElll
; %bb.0:
	s_mov_b32 s10, s7
	s_clause 0x1
	s_load_dword s7, s[4:5], 0x5c
	s_load_dwordx4 s[0:3], s[4:5], 0x10
	v_mov_b32_e32 v1, 0
	s_add_u32 s24, s4, 0x50
	s_addc_u32 s25, s5, 0
	s_waitcnt lgkmcnt(0)
	s_and_b32 s7, s7, 0xffff
	v_mad_u64_u32 v[2:3], null, s7, s6, v[0:1]
	s_mov_b32 s6, exec_lo
	v_lshlrev_b64 v[0:1], 1, v[2:3]
	v_cmpx_gt_i64_e64 s[0:1], v[0:1]
	s_cbranch_execz .LBB41_7
; %bb.1:
	s_load_dwordx2 s[6:7], s[4:5], 0x20
	s_mov_b32 s11, 0
	v_cmp_le_i64_e64 s9, s[2:3], s[10:11]
	s_and_b32 vcc_lo, exec_lo, s9
	s_cbranch_vccnz .LBB41_7
; %bb.2:
	s_mul_i32 s9, s3, s8
	s_mul_hi_u32 s12, s2, s8
	s_mul_i32 s13, s2, s8
	s_add_i32 s12, s12, s9
	v_lshrrev_b64 v[0:1], 4, v[2:3]
	s_add_u32 s9, s13, s10
	s_addc_u32 s12, s12, 0
	s_mul_hi_u32 s13, s0, s9
	s_mul_i32 s12, s0, s12
	s_load_dwordx4 s[20:23], s[4:5], 0x0
	s_add_i32 s12, s13, s12
	s_mul_i32 s13, s1, s9
	v_and_b32_e32 v6, 15, v2
	v_lshlrev_b64 v[2:3], 6, v[0:1]
	s_load_dword s28, s[24:25], 0x4
	s_add_i32 s13, s12, s13
	s_mul_i32 s12, s0, s9
	v_lshlrev_b32_e32 v4, 1, v6
	s_lshl_b64 s[12:13], s[12:13], 1
	s_mul_hi_u32 s26, s2, s0
	v_add_co_u32 v2, vcc_lo, s12, v2
	v_add_co_ci_u32_e64 v3, null, s13, v3, vcc_lo
	s_clause 0x1
	s_load_dwordx8 s[12:19], s[4:5], 0x28
	s_load_dwordx2 s[4:5], s[4:5], 0x48
	v_add_co_u32 v2, vcc_lo, v2, v4
	v_add_co_ci_u32_e64 v3, null, 0, v3, vcc_lo
	s_mov_b32 s9, s11
	s_waitcnt lgkmcnt(0)
	v_add_co_u32 v2, vcc_lo, s22, v2
	v_add_co_ci_u32_e64 v3, null, s23, v3, vcc_lo
	s_mul_i32 s15, s1, s28
	s_mul_hi_u32 s22, s0, s28
	s_mul_i32 s1, s2, s1
	s_add_i32 s23, s22, s15
	s_add_i32 s1, s26, s1
	s_mul_i32 s15, s3, s0
	v_add_co_u32 v2, vcc_lo, v2, 32
	s_add_i32 s27, s1, s15
	v_cmp_gt_i64_e64 s1, s[6:7], s[8:9]
	v_add_co_ci_u32_e64 v3, null, 0, v3, vcc_lo
	s_mul_i32 s22, s0, s28
	s_mul_i32 s26, s2, s0
	s_lshl_b64 s[22:23], s[22:23], 1
	s_lshl_b64 s[26:27], s[26:27], 1
	s_sub_i32 s29, 0, s14
	s_branch .LBB41_4
.LBB41_3:                               ;   in Loop: Header=BB41_4 Depth=1
	s_add_u32 s10, s10, s28
	s_addc_u32 s11, s11, 0
	v_add_co_u32 v2, vcc_lo, v2, s22
	v_cmp_ge_i64_e64 s0, s[10:11], s[2:3]
	v_add_co_ci_u32_e64 v3, null, s23, v3, vcc_lo
	s_and_b32 vcc_lo, exec_lo, s0
	s_cbranch_vccnz .LBB41_7
.LBB41_4:                               ; =>This Loop Header: Depth=1
                                        ;     Child Loop BB41_6 Depth 2
	s_andn2_b32 vcc_lo, exec_lo, s1
	s_cbranch_vccnz .LBB41_3
; %bb.5:                                ;   in Loop: Header=BB41_4 Depth=1
	s_load_dword s30, s[24:25], 0x8
	s_mul_i32 s0, s10, s17
	s_mul_hi_u32 s14, s10, s16
	s_mul_i32 s15, s11, s16
	s_add_i32 s0, s14, s0
	s_mul_i32 s31, s10, s16
	s_add_i32 s0, s0, s15
	v_mov_b32_e32 v5, v3
	s_mul_hi_u32 s33, s31, 20
	s_mul_i32 s0, s0, 20
	v_mov_b32_e32 v4, v2
	s_add_i32 s33, s33, s0
	s_mul_i32 s31, s31, 20
	s_waitcnt lgkmcnt(0)
	s_mul_i32 s0, s27, s30
	s_mul_hi_u32 s14, s26, s30
	s_mul_i32 s34, s26, s30
	s_add_i32 s35, s14, s0
	s_mov_b64 s[14:15], s[8:9]
.LBB41_6:                               ;   Parent Loop BB41_4 Depth=1
                                        ; =>  This Inner Loop Header: Depth=2
	s_mul_hi_u32 s0, s12, s14
	s_add_i32 s0, s14, s0
	s_lshr_b32 s0, s0, s13
	s_mul_i32 s36, s29, s0
	s_mul_i32 s37, s5, s0
	s_mul_hi_u32 s38, s4, s0
	s_add_i32 s36, s14, s36
	s_mul_i32 s0, s4, s0
	s_add_i32 s37, s38, s37
	s_mul_i32 s39, s19, s36
	s_mul_hi_u32 s40, s18, s36
	s_mul_hi_u32 s38, s0, 20
	s_mul_i32 s36, s18, s36
	s_mul_i32 s37, s37, 20
	s_add_i32 s39, s40, s39
	s_mul_i32 s0, s0, 20
	s_add_i32 s38, s38, s37
	s_mul_hi_u32 s37, s36, 20
	s_mul_i32 s39, s39, 20
	s_mul_i32 s36, s36, 20
	s_add_u32 s0, s20, s0
	s_addc_u32 s38, s21, s38
	s_add_i32 s37, s37, s39
	s_add_u32 s0, s0, s36
	s_addc_u32 s37, s38, s37
	s_add_u32 s36, s0, s31
	s_addc_u32 s37, s37, s33
	s_add_u32 s14, s14, s30
	v_mad_u64_u32 v[7:8], null, v0, 20, s[36:37]
	s_addc_u32 s15, s15, 0
	v_cmp_ge_i64_e64 s0, s[14:15], s[6:7]
	v_mad_u64_u32 v[8:9], null, v1, 20, v[8:9]
	v_add_co_u32 v9, vcc_lo, v7, v6
	v_add_co_ci_u32_e64 v10, null, 0, v8, vcc_lo
	s_clause 0x1
	global_load_ubyte v9, v[9:10], off offset:4
	global_load_dword v7, v[7:8], off
	s_and_b32 vcc_lo, exec_lo, s0
	s_waitcnt vmcnt(1)
	v_and_b32_e32 v8, 15, v9
	v_lshrrev_b32_e32 v9, 4, v9
	v_cvt_f32_ubyte0_e32 v8, v8
	v_cvt_f32_ubyte0_e32 v9, v9
	s_waitcnt vmcnt(0)
	v_fma_mixlo_f16 v8, v7, v8, v7 op_sel:[0,0,1] op_sel_hi:[1,0,1]
	v_fma_mixlo_f16 v7, v7, v9, v7 op_sel:[0,0,1] op_sel_hi:[1,0,1]
	global_store_short v[4:5], v8, off offset:-32
	global_store_short v[4:5], v7, off
	v_add_co_u32 v4, s0, v4, s34
	v_add_co_ci_u32_e64 v5, null, s35, v5, s0
	s_cbranch_vccz .LBB41_6
	s_branch .LBB41_3
.LBB41_7:
	s_endpgm
	.section	.rodata,"a",@progbits
	.p2align	6, 0x0
	.amdhsa_kernel _ZL16dequantize_blockILi32ELi2EXadL_ZL15dequantize_q4_1PKvliR15HIP_vector_typeIfLj2EEEE6__halfEvS1_PT2_lllS2_IjLj3EElll
		.amdhsa_group_segment_fixed_size 0
		.amdhsa_private_segment_fixed_size 0
		.amdhsa_kernarg_size 336
		.amdhsa_user_sgpr_count 6
		.amdhsa_user_sgpr_private_segment_buffer 1
		.amdhsa_user_sgpr_dispatch_ptr 0
		.amdhsa_user_sgpr_queue_ptr 0
		.amdhsa_user_sgpr_kernarg_segment_ptr 1
		.amdhsa_user_sgpr_dispatch_id 0
		.amdhsa_user_sgpr_flat_scratch_init 0
		.amdhsa_user_sgpr_private_segment_size 0
		.amdhsa_wavefront_size32 1
		.amdhsa_uses_dynamic_stack 0
		.amdhsa_system_sgpr_private_segment_wavefront_offset 0
		.amdhsa_system_sgpr_workgroup_id_x 1
		.amdhsa_system_sgpr_workgroup_id_y 1
		.amdhsa_system_sgpr_workgroup_id_z 1
		.amdhsa_system_sgpr_workgroup_info 0
		.amdhsa_system_vgpr_workitem_id 0
		.amdhsa_next_free_vgpr 11
		.amdhsa_next_free_sgpr 41
		.amdhsa_reserve_vcc 1
		.amdhsa_reserve_flat_scratch 0
		.amdhsa_float_round_mode_32 0
		.amdhsa_float_round_mode_16_64 0
		.amdhsa_float_denorm_mode_32 3
		.amdhsa_float_denorm_mode_16_64 3
		.amdhsa_dx10_clamp 1
		.amdhsa_ieee_mode 1
		.amdhsa_fp16_overflow 0
		.amdhsa_workgroup_processor_mode 1
		.amdhsa_memory_ordered 1
		.amdhsa_forward_progress 1
		.amdhsa_shared_vgpr_count 0
		.amdhsa_exception_fp_ieee_invalid_op 0
		.amdhsa_exception_fp_denorm_src 0
		.amdhsa_exception_fp_ieee_div_zero 0
		.amdhsa_exception_fp_ieee_overflow 0
		.amdhsa_exception_fp_ieee_underflow 0
		.amdhsa_exception_fp_ieee_inexact 0
		.amdhsa_exception_int_div_zero 0
	.end_amdhsa_kernel
	.section	.text._ZL16dequantize_blockILi32ELi2EXadL_ZL15dequantize_q4_1PKvliR15HIP_vector_typeIfLj2EEEE6__halfEvS1_PT2_lllS2_IjLj3EElll,"axG",@progbits,_ZL16dequantize_blockILi32ELi2EXadL_ZL15dequantize_q4_1PKvliR15HIP_vector_typeIfLj2EEEE6__halfEvS1_PT2_lllS2_IjLj3EElll,comdat
.Lfunc_end41:
	.size	_ZL16dequantize_blockILi32ELi2EXadL_ZL15dequantize_q4_1PKvliR15HIP_vector_typeIfLj2EEEE6__halfEvS1_PT2_lllS2_IjLj3EElll, .Lfunc_end41-_ZL16dequantize_blockILi32ELi2EXadL_ZL15dequantize_q4_1PKvliR15HIP_vector_typeIfLj2EEEE6__halfEvS1_PT2_lllS2_IjLj3EElll
                                        ; -- End function
	.set _ZL16dequantize_blockILi32ELi2EXadL_ZL15dequantize_q4_1PKvliR15HIP_vector_typeIfLj2EEEE6__halfEvS1_PT2_lllS2_IjLj3EElll.num_vgpr, 11
	.set _ZL16dequantize_blockILi32ELi2EXadL_ZL15dequantize_q4_1PKvliR15HIP_vector_typeIfLj2EEEE6__halfEvS1_PT2_lllS2_IjLj3EElll.num_agpr, 0
	.set _ZL16dequantize_blockILi32ELi2EXadL_ZL15dequantize_q4_1PKvliR15HIP_vector_typeIfLj2EEEE6__halfEvS1_PT2_lllS2_IjLj3EElll.numbered_sgpr, 41
	.set _ZL16dequantize_blockILi32ELi2EXadL_ZL15dequantize_q4_1PKvliR15HIP_vector_typeIfLj2EEEE6__halfEvS1_PT2_lllS2_IjLj3EElll.num_named_barrier, 0
	.set _ZL16dequantize_blockILi32ELi2EXadL_ZL15dequantize_q4_1PKvliR15HIP_vector_typeIfLj2EEEE6__halfEvS1_PT2_lllS2_IjLj3EElll.private_seg_size, 0
	.set _ZL16dequantize_blockILi32ELi2EXadL_ZL15dequantize_q4_1PKvliR15HIP_vector_typeIfLj2EEEE6__halfEvS1_PT2_lllS2_IjLj3EElll.uses_vcc, 1
	.set _ZL16dequantize_blockILi32ELi2EXadL_ZL15dequantize_q4_1PKvliR15HIP_vector_typeIfLj2EEEE6__halfEvS1_PT2_lllS2_IjLj3EElll.uses_flat_scratch, 0
	.set _ZL16dequantize_blockILi32ELi2EXadL_ZL15dequantize_q4_1PKvliR15HIP_vector_typeIfLj2EEEE6__halfEvS1_PT2_lllS2_IjLj3EElll.has_dyn_sized_stack, 0
	.set _ZL16dequantize_blockILi32ELi2EXadL_ZL15dequantize_q4_1PKvliR15HIP_vector_typeIfLj2EEEE6__halfEvS1_PT2_lllS2_IjLj3EElll.has_recursion, 0
	.set _ZL16dequantize_blockILi32ELi2EXadL_ZL15dequantize_q4_1PKvliR15HIP_vector_typeIfLj2EEEE6__halfEvS1_PT2_lllS2_IjLj3EElll.has_indirect_call, 0
	.section	.AMDGPU.csdata,"",@progbits
; Kernel info:
; codeLenInByte = 752
; TotalNumSgprs: 43
; NumVgprs: 11
; ScratchSize: 0
; MemoryBound: 0
; FloatMode: 240
; IeeeMode: 1
; LDSByteSize: 0 bytes/workgroup (compile time only)
; SGPRBlocks: 0
; VGPRBlocks: 1
; NumSGPRsForWavesPerEU: 43
; NumVGPRsForWavesPerEU: 11
; Occupancy: 16
; WaveLimiterHint : 0
; COMPUTE_PGM_RSRC2:SCRATCH_EN: 0
; COMPUTE_PGM_RSRC2:USER_SGPR: 6
; COMPUTE_PGM_RSRC2:TRAP_HANDLER: 0
; COMPUTE_PGM_RSRC2:TGID_X_EN: 1
; COMPUTE_PGM_RSRC2:TGID_Y_EN: 1
; COMPUTE_PGM_RSRC2:TGID_Z_EN: 1
; COMPUTE_PGM_RSRC2:TIDIG_COMP_CNT: 0
	.section	.text._ZL16dequantize_blockILi32ELi2EXadL_ZL15dequantize_q5_0PKvliR15HIP_vector_typeIfLj2EEEE6__halfEvS1_PT2_lllS2_IjLj3EElll,"axG",@progbits,_ZL16dequantize_blockILi32ELi2EXadL_ZL15dequantize_q5_0PKvliR15HIP_vector_typeIfLj2EEEE6__halfEvS1_PT2_lllS2_IjLj3EElll,comdat
	.globl	_ZL16dequantize_blockILi32ELi2EXadL_ZL15dequantize_q5_0PKvliR15HIP_vector_typeIfLj2EEEE6__halfEvS1_PT2_lllS2_IjLj3EElll ; -- Begin function _ZL16dequantize_blockILi32ELi2EXadL_ZL15dequantize_q5_0PKvliR15HIP_vector_typeIfLj2EEEE6__halfEvS1_PT2_lllS2_IjLj3EElll
	.p2align	8
	.type	_ZL16dequantize_blockILi32ELi2EXadL_ZL15dequantize_q5_0PKvliR15HIP_vector_typeIfLj2EEEE6__halfEvS1_PT2_lllS2_IjLj3EElll,@function
_ZL16dequantize_blockILi32ELi2EXadL_ZL15dequantize_q5_0PKvliR15HIP_vector_typeIfLj2EEEE6__halfEvS1_PT2_lllS2_IjLj3EElll: ; @_ZL16dequantize_blockILi32ELi2EXadL_ZL15dequantize_q5_0PKvliR15HIP_vector_typeIfLj2EEEE6__halfEvS1_PT2_lllS2_IjLj3EElll
; %bb.0:
	s_mov_b32 s10, s7
	s_clause 0x1
	s_load_dword s7, s[4:5], 0x5c
	s_load_dwordx4 s[0:3], s[4:5], 0x10
	v_mov_b32_e32 v1, 0
	s_add_u32 s24, s4, 0x50
	s_addc_u32 s25, s5, 0
	s_waitcnt lgkmcnt(0)
	s_and_b32 s7, s7, 0xffff
	v_mad_u64_u32 v[2:3], null, s7, s6, v[0:1]
	s_mov_b32 s6, exec_lo
	v_lshlrev_b64 v[0:1], 1, v[2:3]
	v_cmpx_gt_i64_e64 s[0:1], v[0:1]
	s_cbranch_execz .LBB42_7
; %bb.1:
	s_load_dwordx2 s[6:7], s[4:5], 0x20
	s_mov_b32 s11, 0
	v_cmp_le_i64_e64 s9, s[2:3], s[10:11]
	s_and_b32 vcc_lo, exec_lo, s9
	s_cbranch_vccnz .LBB42_7
; %bb.2:
	s_mul_i32 s9, s3, s8
	s_mul_hi_u32 s12, s2, s8
	s_mul_i32 s13, s2, s8
	s_add_i32 s12, s12, s9
	v_lshrrev_b64 v[0:1], 4, v[2:3]
	s_add_u32 s9, s13, s10
	s_load_dwordx4 s[20:23], s[4:5], 0x0
	s_addc_u32 s12, s12, 0
	s_mul_hi_u32 s27, s0, s9
	s_mul_i32 s26, s0, s12
	s_load_dword s28, s[24:25], 0x4
	s_load_dwordx8 s[12:19], s[4:5], 0x28
	s_waitcnt lgkmcnt(0)
	s_add_i32 s15, s27, s26
	s_mul_i32 s26, s1, s9
	v_and_b32_e32 v6, 15, v2
	v_lshlrev_b64 v[2:3], 6, v[0:1]
	s_add_i32 s27, s15, s26
	s_mul_i32 s26, s0, s9
	s_load_dwordx2 s[4:5], s[4:5], 0x48
	s_lshl_b64 s[26:27], s[26:27], 1
	v_lshlrev_b32_e32 v4, 1, v6
	v_add_co_u32 v2, vcc_lo, s26, v2
	v_add_co_ci_u32_e64 v3, null, s27, v3, vcc_lo
	s_mul_hi_u32 s26, s2, s0
	v_add_co_u32 v2, vcc_lo, v2, v4
	v_add_co_ci_u32_e64 v3, null, 0, v3, vcc_lo
	s_mul_i32 s15, s1, s28
	v_add_co_u32 v2, vcc_lo, s22, v2
	v_add_co_ci_u32_e64 v3, null, s23, v3, vcc_lo
	s_mul_hi_u32 s22, s0, s28
	s_mul_i32 s1, s2, s1
	s_mov_b32 s9, s11
	s_add_i32 s23, s22, s15
	s_add_i32 s1, s26, s1
	s_mul_i32 s15, s3, s0
	v_add_co_u32 v2, vcc_lo, v2, 32
	s_add_i32 s27, s1, s15
	v_cmp_gt_i64_e64 s1, s[6:7], s[8:9]
	v_add_nc_u32_e32 v7, 12, v6
	v_add_co_ci_u32_e64 v3, null, 0, v3, vcc_lo
	s_mul_i32 s22, s0, s28
	s_mul_i32 s26, s2, s0
	s_lshl_b64 s[22:23], s[22:23], 1
	s_lshl_b64 s[26:27], s[26:27], 1
	s_sub_i32 s29, 0, s14
	s_branch .LBB42_4
.LBB42_3:                               ;   in Loop: Header=BB42_4 Depth=1
	s_add_u32 s10, s10, s28
	s_addc_u32 s11, s11, 0
	v_add_co_u32 v2, vcc_lo, v2, s22
	v_cmp_ge_i64_e64 s0, s[10:11], s[2:3]
	v_add_co_ci_u32_e64 v3, null, s23, v3, vcc_lo
	s_and_b32 vcc_lo, exec_lo, s0
	s_cbranch_vccnz .LBB42_7
.LBB42_4:                               ; =>This Loop Header: Depth=1
                                        ;     Child Loop BB42_6 Depth 2
	s_andn2_b32 vcc_lo, exec_lo, s1
	s_cbranch_vccnz .LBB42_3
; %bb.5:                                ;   in Loop: Header=BB42_4 Depth=1
	s_load_dword s30, s[24:25], 0x8
	s_mul_i32 s0, s10, s17
	s_mul_hi_u32 s14, s10, s16
	s_mul_i32 s15, s11, s16
	s_add_i32 s0, s14, s0
	s_mul_i32 s31, s10, s16
	s_add_i32 s0, s0, s15
	v_mov_b32_e32 v5, v3
	s_mul_hi_u32 s33, s31, 22
	s_mul_i32 s0, s0, 22
	v_mov_b32_e32 v4, v2
	s_add_i32 s33, s33, s0
	s_mul_i32 s31, s31, 22
	s_waitcnt lgkmcnt(0)
	s_mul_i32 s0, s27, s30
	s_mul_hi_u32 s14, s26, s30
	s_mul_i32 s34, s26, s30
	s_add_i32 s35, s14, s0
	s_mov_b64 s[14:15], s[8:9]
.LBB42_6:                               ;   Parent Loop BB42_4 Depth=1
                                        ; =>  This Inner Loop Header: Depth=2
	s_mul_hi_u32 s0, s12, s14
	s_add_i32 s0, s14, s0
	s_lshr_b32 s0, s0, s13
	s_mul_i32 s36, s29, s0
	s_mul_i32 s37, s5, s0
	s_mul_hi_u32 s38, s4, s0
	s_add_i32 s36, s14, s36
	s_mul_i32 s0, s4, s0
	s_add_i32 s37, s38, s37
	s_mul_i32 s39, s19, s36
	s_mul_hi_u32 s40, s18, s36
	s_mul_hi_u32 s38, s0, 22
	s_mul_i32 s36, s18, s36
	s_mul_i32 s37, s37, 22
	s_add_i32 s39, s40, s39
	s_mul_i32 s0, s0, 22
	s_add_i32 s38, s38, s37
	s_mul_hi_u32 s37, s36, 22
	s_mul_i32 s39, s39, 22
	s_mul_i32 s36, s36, 22
	s_add_u32 s0, s20, s0
	s_addc_u32 s38, s21, s38
	s_add_i32 s37, s37, s39
	s_add_u32 s0, s0, s36
	s_addc_u32 s37, s38, s37
	s_add_u32 s36, s0, s31
	s_addc_u32 s37, s37, s33
	s_add_u32 s14, s14, s30
	v_mad_u64_u32 v[8:9], null, v0, 22, s[36:37]
	s_addc_u32 s15, s15, 0
	v_cmp_ge_i64_e64 s0, s[14:15], s[6:7]
	v_mad_u64_u32 v[10:11], null, v1, 22, v[9:10]
	v_add_co_u32 v11, vcc_lo, v8, v6
	v_mov_b32_e32 v9, v10
	v_add_co_ci_u32_e64 v12, null, 0, v10, vcc_lo
	s_clause 0x2
	global_load_dword v10, v[8:9], off
	global_load_ushort v8, v[8:9], off offset:4
	global_load_ubyte v9, v[11:12], off offset:6
	s_and_b32 vcc_lo, exec_lo, s0
	s_waitcnt vmcnt(1)
	v_perm_b32 v8, v10, v8, 0x1000706
	s_waitcnt vmcnt(0)
	v_lshrrev_b16 v11, 4, v9
	v_or_b32_e32 v9, -16, v9
	v_lshrrev_b32_e32 v12, v6, v8
	v_lshrrev_b32_e32 v8, v7, v8
	v_or_b32_e32 v11, -16, v11
	v_lshlrev_b32_e32 v12, 4, v12
	v_and_b32_e32 v8, 16, v8
	v_and_b32_e32 v12, 16, v12
	v_add_nc_u32_sdwa v8, v8, sext(v11) dst_sel:DWORD dst_unused:UNUSED_PAD src0_sel:DWORD src1_sel:WORD_0
	v_add_nc_u32_e32 v9, v9, v12
	v_cvt_f32_i32_e32 v8, v8
	v_cvt_f32_i32_e32 v9, v9
	v_fma_mixlo_f16 v8, v10, v8, 0 op_sel_hi:[1,0,0]
	v_fma_mixlo_f16 v9, v10, v9, 0 op_sel_hi:[1,0,0]
	global_store_short v[4:5], v8, off
	global_store_short v[4:5], v9, off offset:-32
	v_add_co_u32 v4, s0, v4, s34
	v_add_co_ci_u32_e64 v5, null, s35, v5, s0
	s_cbranch_vccz .LBB42_6
	s_branch .LBB42_3
.LBB42_7:
	s_endpgm
	.section	.rodata,"a",@progbits
	.p2align	6, 0x0
	.amdhsa_kernel _ZL16dequantize_blockILi32ELi2EXadL_ZL15dequantize_q5_0PKvliR15HIP_vector_typeIfLj2EEEE6__halfEvS1_PT2_lllS2_IjLj3EElll
		.amdhsa_group_segment_fixed_size 0
		.amdhsa_private_segment_fixed_size 0
		.amdhsa_kernarg_size 336
		.amdhsa_user_sgpr_count 6
		.amdhsa_user_sgpr_private_segment_buffer 1
		.amdhsa_user_sgpr_dispatch_ptr 0
		.amdhsa_user_sgpr_queue_ptr 0
		.amdhsa_user_sgpr_kernarg_segment_ptr 1
		.amdhsa_user_sgpr_dispatch_id 0
		.amdhsa_user_sgpr_flat_scratch_init 0
		.amdhsa_user_sgpr_private_segment_size 0
		.amdhsa_wavefront_size32 1
		.amdhsa_uses_dynamic_stack 0
		.amdhsa_system_sgpr_private_segment_wavefront_offset 0
		.amdhsa_system_sgpr_workgroup_id_x 1
		.amdhsa_system_sgpr_workgroup_id_y 1
		.amdhsa_system_sgpr_workgroup_id_z 1
		.amdhsa_system_sgpr_workgroup_info 0
		.amdhsa_system_vgpr_workitem_id 0
		.amdhsa_next_free_vgpr 13
		.amdhsa_next_free_sgpr 41
		.amdhsa_reserve_vcc 1
		.amdhsa_reserve_flat_scratch 0
		.amdhsa_float_round_mode_32 0
		.amdhsa_float_round_mode_16_64 0
		.amdhsa_float_denorm_mode_32 3
		.amdhsa_float_denorm_mode_16_64 3
		.amdhsa_dx10_clamp 1
		.amdhsa_ieee_mode 1
		.amdhsa_fp16_overflow 0
		.amdhsa_workgroup_processor_mode 1
		.amdhsa_memory_ordered 1
		.amdhsa_forward_progress 1
		.amdhsa_shared_vgpr_count 0
		.amdhsa_exception_fp_ieee_invalid_op 0
		.amdhsa_exception_fp_denorm_src 0
		.amdhsa_exception_fp_ieee_div_zero 0
		.amdhsa_exception_fp_ieee_overflow 0
		.amdhsa_exception_fp_ieee_underflow 0
		.amdhsa_exception_fp_ieee_inexact 0
		.amdhsa_exception_int_div_zero 0
	.end_amdhsa_kernel
	.section	.text._ZL16dequantize_blockILi32ELi2EXadL_ZL15dequantize_q5_0PKvliR15HIP_vector_typeIfLj2EEEE6__halfEvS1_PT2_lllS2_IjLj3EElll,"axG",@progbits,_ZL16dequantize_blockILi32ELi2EXadL_ZL15dequantize_q5_0PKvliR15HIP_vector_typeIfLj2EEEE6__halfEvS1_PT2_lllS2_IjLj3EElll,comdat
.Lfunc_end42:
	.size	_ZL16dequantize_blockILi32ELi2EXadL_ZL15dequantize_q5_0PKvliR15HIP_vector_typeIfLj2EEEE6__halfEvS1_PT2_lllS2_IjLj3EElll, .Lfunc_end42-_ZL16dequantize_blockILi32ELi2EXadL_ZL15dequantize_q5_0PKvliR15HIP_vector_typeIfLj2EEEE6__halfEvS1_PT2_lllS2_IjLj3EElll
                                        ; -- End function
	.set _ZL16dequantize_blockILi32ELi2EXadL_ZL15dequantize_q5_0PKvliR15HIP_vector_typeIfLj2EEEE6__halfEvS1_PT2_lllS2_IjLj3EElll.num_vgpr, 13
	.set _ZL16dequantize_blockILi32ELi2EXadL_ZL15dequantize_q5_0PKvliR15HIP_vector_typeIfLj2EEEE6__halfEvS1_PT2_lllS2_IjLj3EElll.num_agpr, 0
	.set _ZL16dequantize_blockILi32ELi2EXadL_ZL15dequantize_q5_0PKvliR15HIP_vector_typeIfLj2EEEE6__halfEvS1_PT2_lllS2_IjLj3EElll.numbered_sgpr, 41
	.set _ZL16dequantize_blockILi32ELi2EXadL_ZL15dequantize_q5_0PKvliR15HIP_vector_typeIfLj2EEEE6__halfEvS1_PT2_lllS2_IjLj3EElll.num_named_barrier, 0
	.set _ZL16dequantize_blockILi32ELi2EXadL_ZL15dequantize_q5_0PKvliR15HIP_vector_typeIfLj2EEEE6__halfEvS1_PT2_lllS2_IjLj3EElll.private_seg_size, 0
	.set _ZL16dequantize_blockILi32ELi2EXadL_ZL15dequantize_q5_0PKvliR15HIP_vector_typeIfLj2EEEE6__halfEvS1_PT2_lllS2_IjLj3EElll.uses_vcc, 1
	.set _ZL16dequantize_blockILi32ELi2EXadL_ZL15dequantize_q5_0PKvliR15HIP_vector_typeIfLj2EEEE6__halfEvS1_PT2_lllS2_IjLj3EElll.uses_flat_scratch, 0
	.set _ZL16dequantize_blockILi32ELi2EXadL_ZL15dequantize_q5_0PKvliR15HIP_vector_typeIfLj2EEEE6__halfEvS1_PT2_lllS2_IjLj3EElll.has_dyn_sized_stack, 0
	.set _ZL16dequantize_blockILi32ELi2EXadL_ZL15dequantize_q5_0PKvliR15HIP_vector_typeIfLj2EEEE6__halfEvS1_PT2_lllS2_IjLj3EElll.has_recursion, 0
	.set _ZL16dequantize_blockILi32ELi2EXadL_ZL15dequantize_q5_0PKvliR15HIP_vector_typeIfLj2EEEE6__halfEvS1_PT2_lllS2_IjLj3EElll.has_indirect_call, 0
	.section	.AMDGPU.csdata,"",@progbits
; Kernel info:
; codeLenInByte = 816
; TotalNumSgprs: 43
; NumVgprs: 13
; ScratchSize: 0
; MemoryBound: 0
; FloatMode: 240
; IeeeMode: 1
; LDSByteSize: 0 bytes/workgroup (compile time only)
; SGPRBlocks: 0
; VGPRBlocks: 1
; NumSGPRsForWavesPerEU: 43
; NumVGPRsForWavesPerEU: 13
; Occupancy: 16
; WaveLimiterHint : 0
; COMPUTE_PGM_RSRC2:SCRATCH_EN: 0
; COMPUTE_PGM_RSRC2:USER_SGPR: 6
; COMPUTE_PGM_RSRC2:TRAP_HANDLER: 0
; COMPUTE_PGM_RSRC2:TGID_X_EN: 1
; COMPUTE_PGM_RSRC2:TGID_Y_EN: 1
; COMPUTE_PGM_RSRC2:TGID_Z_EN: 1
; COMPUTE_PGM_RSRC2:TIDIG_COMP_CNT: 0
	.section	.text._ZL16dequantize_blockILi32ELi2EXadL_ZL15dequantize_q5_1PKvliR15HIP_vector_typeIfLj2EEEE6__halfEvS1_PT2_lllS2_IjLj3EElll,"axG",@progbits,_ZL16dequantize_blockILi32ELi2EXadL_ZL15dequantize_q5_1PKvliR15HIP_vector_typeIfLj2EEEE6__halfEvS1_PT2_lllS2_IjLj3EElll,comdat
	.globl	_ZL16dequantize_blockILi32ELi2EXadL_ZL15dequantize_q5_1PKvliR15HIP_vector_typeIfLj2EEEE6__halfEvS1_PT2_lllS2_IjLj3EElll ; -- Begin function _ZL16dequantize_blockILi32ELi2EXadL_ZL15dequantize_q5_1PKvliR15HIP_vector_typeIfLj2EEEE6__halfEvS1_PT2_lllS2_IjLj3EElll
	.p2align	8
	.type	_ZL16dequantize_blockILi32ELi2EXadL_ZL15dequantize_q5_1PKvliR15HIP_vector_typeIfLj2EEEE6__halfEvS1_PT2_lllS2_IjLj3EElll,@function
_ZL16dequantize_blockILi32ELi2EXadL_ZL15dequantize_q5_1PKvliR15HIP_vector_typeIfLj2EEEE6__halfEvS1_PT2_lllS2_IjLj3EElll: ; @_ZL16dequantize_blockILi32ELi2EXadL_ZL15dequantize_q5_1PKvliR15HIP_vector_typeIfLj2EEEE6__halfEvS1_PT2_lllS2_IjLj3EElll
; %bb.0:
	s_mov_b32 s10, s7
	s_clause 0x1
	s_load_dword s7, s[4:5], 0x5c
	s_load_dwordx4 s[0:3], s[4:5], 0x10
	v_mov_b32_e32 v1, 0
	s_add_u32 s24, s4, 0x50
	s_addc_u32 s25, s5, 0
	s_waitcnt lgkmcnt(0)
	s_and_b32 s7, s7, 0xffff
	v_mad_u64_u32 v[2:3], null, s7, s6, v[0:1]
	s_mov_b32 s6, exec_lo
	v_lshlrev_b64 v[0:1], 1, v[2:3]
	v_cmpx_gt_i64_e64 s[0:1], v[0:1]
	s_cbranch_execz .LBB43_7
; %bb.1:
	s_load_dwordx2 s[6:7], s[4:5], 0x20
	s_mov_b32 s11, 0
	v_cmp_le_i64_e64 s9, s[2:3], s[10:11]
	s_and_b32 vcc_lo, exec_lo, s9
	s_cbranch_vccnz .LBB43_7
; %bb.2:
	s_mul_i32 s9, s3, s8
	s_mul_hi_u32 s12, s2, s8
	s_mul_i32 s13, s2, s8
	s_add_i32 s12, s12, s9
	v_lshrrev_b64 v[0:1], 4, v[2:3]
	s_add_u32 s9, s13, s10
	s_load_dwordx4 s[20:23], s[4:5], 0x0
	s_addc_u32 s12, s12, 0
	s_mul_hi_u32 s27, s0, s9
	s_mul_i32 s26, s0, s12
	s_load_dword s28, s[24:25], 0x4
	s_load_dwordx8 s[12:19], s[4:5], 0x28
	s_waitcnt lgkmcnt(0)
	s_add_i32 s15, s27, s26
	s_mul_i32 s26, s1, s9
	v_and_b32_e32 v6, 15, v2
	v_lshlrev_b64 v[2:3], 6, v[0:1]
	s_add_i32 s27, s15, s26
	s_mul_i32 s26, s0, s9
	s_load_dwordx2 s[4:5], s[4:5], 0x48
	s_lshl_b64 s[26:27], s[26:27], 1
	v_lshlrev_b32_e32 v4, 1, v6
	v_add_co_u32 v2, vcc_lo, s26, v2
	v_add_co_ci_u32_e64 v3, null, s27, v3, vcc_lo
	s_mul_hi_u32 s26, s2, s0
	v_add_co_u32 v2, vcc_lo, v2, v4
	v_add_co_ci_u32_e64 v3, null, 0, v3, vcc_lo
	s_mul_i32 s15, s1, s28
	v_add_co_u32 v2, vcc_lo, s22, v2
	v_add_co_ci_u32_e64 v3, null, s23, v3, vcc_lo
	s_mul_hi_u32 s22, s0, s28
	s_mul_i32 s1, s2, s1
	s_mov_b32 s9, s11
	s_add_i32 s23, s22, s15
	s_add_i32 s1, s26, s1
	s_mul_i32 s15, s3, s0
	v_add_co_u32 v2, vcc_lo, v2, 32
	s_add_i32 s27, s1, s15
	v_cmp_gt_i64_e64 s1, s[6:7], s[8:9]
	v_add_nc_u32_e32 v7, 12, v6
	v_add_co_ci_u32_e64 v3, null, 0, v3, vcc_lo
	s_mul_i32 s22, s0, s28
	s_mul_i32 s26, s2, s0
	s_lshl_b64 s[22:23], s[22:23], 1
	s_lshl_b64 s[26:27], s[26:27], 1
	s_sub_i32 s29, 0, s14
	s_branch .LBB43_4
.LBB43_3:                               ;   in Loop: Header=BB43_4 Depth=1
	s_add_u32 s10, s10, s28
	s_addc_u32 s11, s11, 0
	v_add_co_u32 v2, vcc_lo, v2, s22
	v_cmp_ge_i64_e64 s0, s[10:11], s[2:3]
	v_add_co_ci_u32_e64 v3, null, s23, v3, vcc_lo
	s_and_b32 vcc_lo, exec_lo, s0
	s_cbranch_vccnz .LBB43_7
.LBB43_4:                               ; =>This Loop Header: Depth=1
                                        ;     Child Loop BB43_6 Depth 2
	s_andn2_b32 vcc_lo, exec_lo, s1
	s_cbranch_vccnz .LBB43_3
; %bb.5:                                ;   in Loop: Header=BB43_4 Depth=1
	s_load_dword s30, s[24:25], 0x8
	s_mul_i32 s0, s10, s17
	s_mul_hi_u32 s14, s10, s16
	s_mul_i32 s15, s11, s16
	s_add_i32 s0, s14, s0
	s_mul_i32 s31, s10, s16
	s_add_i32 s0, s0, s15
	v_mov_b32_e32 v5, v3
	s_mul_hi_u32 s33, s31, 24
	s_mul_i32 s0, s0, 24
	v_mov_b32_e32 v4, v2
	s_add_i32 s33, s33, s0
	s_mul_i32 s31, s31, 24
	s_waitcnt lgkmcnt(0)
	s_mul_i32 s0, s27, s30
	s_mul_hi_u32 s14, s26, s30
	s_mul_i32 s34, s26, s30
	s_add_i32 s35, s14, s0
	s_mov_b64 s[14:15], s[8:9]
.LBB43_6:                               ;   Parent Loop BB43_4 Depth=1
                                        ; =>  This Inner Loop Header: Depth=2
	s_mul_hi_u32 s0, s12, s14
	s_add_i32 s0, s14, s0
	s_lshr_b32 s0, s0, s13
	s_mul_i32 s36, s29, s0
	s_mul_i32 s37, s5, s0
	s_mul_hi_u32 s38, s4, s0
	s_add_i32 s36, s14, s36
	s_mul_i32 s0, s4, s0
	s_add_i32 s37, s38, s37
	s_mul_i32 s39, s19, s36
	s_mul_hi_u32 s40, s18, s36
	s_mul_hi_u32 s38, s0, 24
	s_mul_i32 s36, s18, s36
	s_mul_i32 s37, s37, 24
	s_add_i32 s39, s40, s39
	s_mul_i32 s0, s0, 24
	s_add_i32 s38, s38, s37
	s_mul_hi_u32 s37, s36, 24
	s_mul_i32 s39, s39, 24
	s_mul_i32 s36, s36, 24
	s_add_u32 s0, s20, s0
	s_addc_u32 s38, s21, s38
	s_add_i32 s37, s37, s39
	s_add_u32 s0, s0, s36
	s_addc_u32 s37, s38, s37
	s_add_u32 s36, s0, s31
	s_addc_u32 s37, s37, s33
	s_add_u32 s14, s14, s30
	v_mad_u64_u32 v[8:9], null, v0, 24, s[36:37]
	s_addc_u32 s15, s15, 0
	v_cmp_ge_i64_e64 s0, s[14:15], s[6:7]
	v_mad_u64_u32 v[10:11], null, v1, 24, v[9:10]
	v_add_co_u32 v11, vcc_lo, v8, v6
	v_mov_b32_e32 v9, v10
	v_add_co_ci_u32_e64 v12, null, 0, v10, vcc_lo
	s_clause 0x1
	global_load_dwordx2 v[8:9], v[8:9], off
	global_load_ubyte v10, v[11:12], off offset:8
	s_and_b32 vcc_lo, exec_lo, s0
	s_waitcnt vmcnt(1)
	v_lshrrev_b32_e32 v11, v6, v9
	v_lshrrev_b32_e32 v9, v7, v9
	s_waitcnt vmcnt(0)
	v_and_b32_e32 v12, 15, v10
	v_lshrrev_b16 v10, 4, v10
	v_lshlrev_b32_e32 v11, 4, v11
	v_and_or_b32 v9, v9, 16, v10
	v_and_or_b32 v10, v11, 16, v12
	v_cvt_f32_ubyte0_e32 v9, v9
	v_cvt_f32_ubyte0_e32 v10, v10
	v_fma_mixlo_f16 v9, v8, v9, v8 op_sel:[0,0,1] op_sel_hi:[1,0,1]
	v_fma_mixlo_f16 v8, v8, v10, v8 op_sel:[0,0,1] op_sel_hi:[1,0,1]
	global_store_short v[4:5], v9, off
	global_store_short v[4:5], v8, off offset:-32
	v_add_co_u32 v4, s0, v4, s34
	v_add_co_ci_u32_e64 v5, null, s35, v5, s0
	s_cbranch_vccz .LBB43_6
	s_branch .LBB43_3
.LBB43_7:
	s_endpgm
	.section	.rodata,"a",@progbits
	.p2align	6, 0x0
	.amdhsa_kernel _ZL16dequantize_blockILi32ELi2EXadL_ZL15dequantize_q5_1PKvliR15HIP_vector_typeIfLj2EEEE6__halfEvS1_PT2_lllS2_IjLj3EElll
		.amdhsa_group_segment_fixed_size 0
		.amdhsa_private_segment_fixed_size 0
		.amdhsa_kernarg_size 336
		.amdhsa_user_sgpr_count 6
		.amdhsa_user_sgpr_private_segment_buffer 1
		.amdhsa_user_sgpr_dispatch_ptr 0
		.amdhsa_user_sgpr_queue_ptr 0
		.amdhsa_user_sgpr_kernarg_segment_ptr 1
		.amdhsa_user_sgpr_dispatch_id 0
		.amdhsa_user_sgpr_flat_scratch_init 0
		.amdhsa_user_sgpr_private_segment_size 0
		.amdhsa_wavefront_size32 1
		.amdhsa_uses_dynamic_stack 0
		.amdhsa_system_sgpr_private_segment_wavefront_offset 0
		.amdhsa_system_sgpr_workgroup_id_x 1
		.amdhsa_system_sgpr_workgroup_id_y 1
		.amdhsa_system_sgpr_workgroup_id_z 1
		.amdhsa_system_sgpr_workgroup_info 0
		.amdhsa_system_vgpr_workitem_id 0
		.amdhsa_next_free_vgpr 13
		.amdhsa_next_free_sgpr 41
		.amdhsa_reserve_vcc 1
		.amdhsa_reserve_flat_scratch 0
		.amdhsa_float_round_mode_32 0
		.amdhsa_float_round_mode_16_64 0
		.amdhsa_float_denorm_mode_32 3
		.amdhsa_float_denorm_mode_16_64 3
		.amdhsa_dx10_clamp 1
		.amdhsa_ieee_mode 1
		.amdhsa_fp16_overflow 0
		.amdhsa_workgroup_processor_mode 1
		.amdhsa_memory_ordered 1
		.amdhsa_forward_progress 1
		.amdhsa_shared_vgpr_count 0
		.amdhsa_exception_fp_ieee_invalid_op 0
		.amdhsa_exception_fp_denorm_src 0
		.amdhsa_exception_fp_ieee_div_zero 0
		.amdhsa_exception_fp_ieee_overflow 0
		.amdhsa_exception_fp_ieee_underflow 0
		.amdhsa_exception_fp_ieee_inexact 0
		.amdhsa_exception_int_div_zero 0
	.end_amdhsa_kernel
	.section	.text._ZL16dequantize_blockILi32ELi2EXadL_ZL15dequantize_q5_1PKvliR15HIP_vector_typeIfLj2EEEE6__halfEvS1_PT2_lllS2_IjLj3EElll,"axG",@progbits,_ZL16dequantize_blockILi32ELi2EXadL_ZL15dequantize_q5_1PKvliR15HIP_vector_typeIfLj2EEEE6__halfEvS1_PT2_lllS2_IjLj3EElll,comdat
.Lfunc_end43:
	.size	_ZL16dequantize_blockILi32ELi2EXadL_ZL15dequantize_q5_1PKvliR15HIP_vector_typeIfLj2EEEE6__halfEvS1_PT2_lllS2_IjLj3EElll, .Lfunc_end43-_ZL16dequantize_blockILi32ELi2EXadL_ZL15dequantize_q5_1PKvliR15HIP_vector_typeIfLj2EEEE6__halfEvS1_PT2_lllS2_IjLj3EElll
                                        ; -- End function
	.set _ZL16dequantize_blockILi32ELi2EXadL_ZL15dequantize_q5_1PKvliR15HIP_vector_typeIfLj2EEEE6__halfEvS1_PT2_lllS2_IjLj3EElll.num_vgpr, 13
	.set _ZL16dequantize_blockILi32ELi2EXadL_ZL15dequantize_q5_1PKvliR15HIP_vector_typeIfLj2EEEE6__halfEvS1_PT2_lllS2_IjLj3EElll.num_agpr, 0
	.set _ZL16dequantize_blockILi32ELi2EXadL_ZL15dequantize_q5_1PKvliR15HIP_vector_typeIfLj2EEEE6__halfEvS1_PT2_lllS2_IjLj3EElll.numbered_sgpr, 41
	.set _ZL16dequantize_blockILi32ELi2EXadL_ZL15dequantize_q5_1PKvliR15HIP_vector_typeIfLj2EEEE6__halfEvS1_PT2_lllS2_IjLj3EElll.num_named_barrier, 0
	.set _ZL16dequantize_blockILi32ELi2EXadL_ZL15dequantize_q5_1PKvliR15HIP_vector_typeIfLj2EEEE6__halfEvS1_PT2_lllS2_IjLj3EElll.private_seg_size, 0
	.set _ZL16dequantize_blockILi32ELi2EXadL_ZL15dequantize_q5_1PKvliR15HIP_vector_typeIfLj2EEEE6__halfEvS1_PT2_lllS2_IjLj3EElll.uses_vcc, 1
	.set _ZL16dequantize_blockILi32ELi2EXadL_ZL15dequantize_q5_1PKvliR15HIP_vector_typeIfLj2EEEE6__halfEvS1_PT2_lllS2_IjLj3EElll.uses_flat_scratch, 0
	.set _ZL16dequantize_blockILi32ELi2EXadL_ZL15dequantize_q5_1PKvliR15HIP_vector_typeIfLj2EEEE6__halfEvS1_PT2_lllS2_IjLj3EElll.has_dyn_sized_stack, 0
	.set _ZL16dequantize_blockILi32ELi2EXadL_ZL15dequantize_q5_1PKvliR15HIP_vector_typeIfLj2EEEE6__halfEvS1_PT2_lllS2_IjLj3EElll.has_recursion, 0
	.set _ZL16dequantize_blockILi32ELi2EXadL_ZL15dequantize_q5_1PKvliR15HIP_vector_typeIfLj2EEEE6__halfEvS1_PT2_lllS2_IjLj3EElll.has_indirect_call, 0
	.section	.AMDGPU.csdata,"",@progbits
; Kernel info:
; codeLenInByte = 788
; TotalNumSgprs: 43
; NumVgprs: 13
; ScratchSize: 0
; MemoryBound: 0
; FloatMode: 240
; IeeeMode: 1
; LDSByteSize: 0 bytes/workgroup (compile time only)
; SGPRBlocks: 0
; VGPRBlocks: 1
; NumSGPRsForWavesPerEU: 43
; NumVGPRsForWavesPerEU: 13
; Occupancy: 16
; WaveLimiterHint : 0
; COMPUTE_PGM_RSRC2:SCRATCH_EN: 0
; COMPUTE_PGM_RSRC2:USER_SGPR: 6
; COMPUTE_PGM_RSRC2:TRAP_HANDLER: 0
; COMPUTE_PGM_RSRC2:TGID_X_EN: 1
; COMPUTE_PGM_RSRC2:TGID_Y_EN: 1
; COMPUTE_PGM_RSRC2:TGID_Z_EN: 1
; COMPUTE_PGM_RSRC2:TIDIG_COMP_CNT: 0
	.section	.text._ZL16dequantize_blockILi32ELi1EXadL_ZL15dequantize_q8_0PKvliR15HIP_vector_typeIfLj2EEEE6__halfEvS1_PT2_lllS2_IjLj3EElll,"axG",@progbits,_ZL16dequantize_blockILi32ELi1EXadL_ZL15dequantize_q8_0PKvliR15HIP_vector_typeIfLj2EEEE6__halfEvS1_PT2_lllS2_IjLj3EElll,comdat
	.globl	_ZL16dequantize_blockILi32ELi1EXadL_ZL15dequantize_q8_0PKvliR15HIP_vector_typeIfLj2EEEE6__halfEvS1_PT2_lllS2_IjLj3EElll ; -- Begin function _ZL16dequantize_blockILi32ELi1EXadL_ZL15dequantize_q8_0PKvliR15HIP_vector_typeIfLj2EEEE6__halfEvS1_PT2_lllS2_IjLj3EElll
	.p2align	8
	.type	_ZL16dequantize_blockILi32ELi1EXadL_ZL15dequantize_q8_0PKvliR15HIP_vector_typeIfLj2EEEE6__halfEvS1_PT2_lllS2_IjLj3EElll,@function
_ZL16dequantize_blockILi32ELi1EXadL_ZL15dequantize_q8_0PKvliR15HIP_vector_typeIfLj2EEEE6__halfEvS1_PT2_lllS2_IjLj3EElll: ; @_ZL16dequantize_blockILi32ELi1EXadL_ZL15dequantize_q8_0PKvliR15HIP_vector_typeIfLj2EEEE6__halfEvS1_PT2_lllS2_IjLj3EElll
; %bb.0:
	s_mov_b32 s10, s7
	s_clause 0x1
	s_load_dword s7, s[4:5], 0x5c
	s_load_dwordx4 s[0:3], s[4:5], 0x10
	v_mov_b32_e32 v1, 0
	s_add_u32 s24, s4, 0x50
	s_addc_u32 s25, s5, 0
	s_waitcnt lgkmcnt(0)
	s_and_b32 s9, s7, 0xffff
	v_mad_u64_u32 v[1:2], null, s9, s6, v[0:1]
	s_mov_b32 s9, exec_lo
	v_lshlrev_b64 v[3:4], 1, v[1:2]
	v_cmpx_gt_i64_e64 s[0:1], v[3:4]
	s_cbranch_execz .LBB44_7
; %bb.1:
	s_load_dwordx2 s[26:27], s[4:5], 0x20
	s_mov_b32 s11, 0
	v_cmp_le_i64_e64 s9, s[2:3], s[10:11]
	s_and_b32 vcc_lo, exec_lo, s9
	s_cbranch_vccnz .LBB44_7
; %bb.2:
	s_mul_i32 s9, s3, s8
	s_mul_hi_u32 s12, s2, s8
	s_mul_i32 s13, s2, s8
	s_add_i32 s12, s12, s9
	v_lshrrev_b64 v[1:2], 4, v[1:2]
	s_mul_i32 s6, s6, s7
	s_add_u32 s9, s13, s10
	s_load_dwordx4 s[20:23], s[4:5], 0x0
	s_addc_u32 s12, s12, 0
	v_add_nc_u16 v0, s6, v0
	s_mul_i32 s12, s0, s12
	s_mul_hi_u32 s7, s0, s9
	s_load_dword s28, s[24:25], 0x4
	s_add_i32 s6, s7, s12
	s_mul_i32 s7, s1, s9
	v_lshlrev_b64 v[4:5], 6, v[1:2]
	v_and_b32_e32 v0, 15, v0
	s_add_i32 s7, s6, s7
	s_mul_i32 s6, s0, s9
	s_load_dwordx8 s[12:19], s[4:5], 0x28
	s_lshl_b64 s[6:7], s[6:7], 1
	v_lshlrev_b32_e32 v0, 2, v0
	v_add_co_u32 v4, vcc_lo, s6, v4
	v_add_co_ci_u32_e64 v5, null, s7, v5, vcc_lo
	s_load_dwordx2 s[4:5], s[4:5], 0x48
	v_add_co_u32 v0, vcc_lo, v4, v0
	v_add_co_ci_u32_e64 v4, null, 0, v5, vcc_lo
	s_waitcnt lgkmcnt(0)
	s_mul_hi_u32 s15, s2, s0
	v_add_co_u32 v5, vcc_lo, s22, v0
	v_add_co_ci_u32_e64 v4, null, s23, v4, vcc_lo
	s_mul_i32 s6, s1, s28
	s_mul_i32 s1, s2, s1
	s_mov_b32 s9, s11
	s_add_i32 s1, s15, s1
	s_mul_i32 s15, s3, s0
	v_and_b32_e32 v0, 30, v3
	v_add_co_u32 v3, vcc_lo, v5, 2
	s_mul_hi_u32 s7, s0, s28
	s_add_i32 s23, s1, s15
	v_cmp_gt_i64_e64 s1, s[26:27], s[8:9]
	v_add_co_ci_u32_e64 v4, null, 0, v4, vcc_lo
	s_add_i32 s7, s7, s6
	s_mul_i32 s6, s0, s28
	s_mul_i32 s22, s2, s0
	s_lshl_b64 s[6:7], s[6:7], 1
	s_lshl_b64 s[22:23], s[22:23], 1
	s_sub_i32 s29, 0, s14
	s_branch .LBB44_4
.LBB44_3:                               ;   in Loop: Header=BB44_4 Depth=1
	s_add_u32 s10, s10, s28
	s_addc_u32 s11, s11, 0
	v_add_co_u32 v3, vcc_lo, v3, s6
	v_cmp_ge_i64_e64 s0, s[10:11], s[2:3]
	v_add_co_ci_u32_e64 v4, null, s7, v4, vcc_lo
	s_and_b32 vcc_lo, exec_lo, s0
	s_cbranch_vccnz .LBB44_7
.LBB44_4:                               ; =>This Loop Header: Depth=1
                                        ;     Child Loop BB44_6 Depth 2
	s_andn2_b32 vcc_lo, exec_lo, s1
	s_cbranch_vccnz .LBB44_3
; %bb.5:                                ;   in Loop: Header=BB44_4 Depth=1
	s_load_dword s30, s[24:25], 0x8
	s_mul_i32 s0, s10, s17
	s_mul_hi_u32 s14, s10, s16
	s_mul_i32 s15, s11, s16
	s_add_i32 s0, s14, s0
	s_mul_i32 s31, s10, s16
	s_add_i32 s0, s0, s15
	v_mov_b32_e32 v6, v4
	s_mul_hi_u32 s33, s31, 34
	s_mul_i32 s0, s0, 34
	v_mov_b32_e32 v5, v3
	s_add_i32 s33, s33, s0
	s_mul_i32 s31, s31, 34
	s_waitcnt lgkmcnt(0)
	s_mul_i32 s0, s23, s30
	s_mul_hi_u32 s14, s22, s30
	s_mul_i32 s34, s22, s30
	s_add_i32 s35, s14, s0
	s_mov_b64 s[14:15], s[8:9]
.LBB44_6:                               ;   Parent Loop BB44_4 Depth=1
                                        ; =>  This Inner Loop Header: Depth=2
	s_mul_hi_u32 s0, s12, s14
	s_add_i32 s0, s14, s0
	s_lshr_b32 s0, s0, s13
	s_mul_i32 s36, s29, s0
	s_mul_i32 s37, s5, s0
	s_mul_hi_u32 s38, s4, s0
	s_add_i32 s36, s14, s36
	s_mul_i32 s0, s4, s0
	s_add_i32 s37, s38, s37
	s_mul_i32 s39, s19, s36
	s_mul_hi_u32 s40, s18, s36
	s_mul_hi_u32 s38, s0, 34
	s_mul_i32 s36, s18, s36
	s_mul_i32 s37, s37, 34
	s_add_i32 s39, s40, s39
	s_mul_i32 s0, s0, 34
	s_add_i32 s38, s38, s37
	s_mul_hi_u32 s37, s36, 34
	s_mul_i32 s39, s39, 34
	s_mul_i32 s36, s36, 34
	s_add_u32 s0, s20, s0
	s_addc_u32 s38, s21, s38
	s_add_i32 s37, s37, s39
	s_add_u32 s0, s0, s36
	s_addc_u32 s37, s38, s37
	s_add_u32 s36, s0, s31
	s_addc_u32 s37, s37, s33
	s_add_u32 s14, s14, s30
	v_mad_u64_u32 v[7:8], null, v1, 34, s[36:37]
	s_addc_u32 s15, s15, 0
	v_cmp_ge_i64_e64 s0, s[14:15], s[26:27]
	v_mad_u64_u32 v[8:9], null, v2, 34, v[8:9]
	v_add_co_u32 v9, vcc_lo, v7, v0
	v_add_co_ci_u32_e64 v10, null, 0, v8, vcc_lo
	s_clause 0x1
	global_load_ushort v9, v[9:10], off offset:2
	global_load_ushort v7, v[7:8], off
	s_and_b32 vcc_lo, exec_lo, s0
	s_waitcnt vmcnt(1)
	v_bfe_i32 v8, v9, 0, 8
	v_ashrrev_i16 v9, 8, v9
	v_cvt_f32_i32_sdwa v8, sext(v8) dst_sel:DWORD dst_unused:UNUSED_PAD src0_sel:WORD_0
	v_cvt_f32_i32_sdwa v9, sext(v9) dst_sel:DWORD dst_unused:UNUSED_PAD src0_sel:WORD_0
	s_waitcnt vmcnt(0)
	v_fma_mixlo_f16 v8, v7, v8, 0 op_sel_hi:[1,0,0]
	v_fma_mixhi_f16 v8, v7, v9, 0 op_sel_hi:[1,0,0]
	global_store_dword v[5:6], v8, off offset:-2
	v_add_co_u32 v5, s0, v5, s34
	v_add_co_ci_u32_e64 v6, null, s35, v6, s0
	s_cbranch_vccz .LBB44_6
	s_branch .LBB44_3
.LBB44_7:
	s_endpgm
	.section	.rodata,"a",@progbits
	.p2align	6, 0x0
	.amdhsa_kernel _ZL16dequantize_blockILi32ELi1EXadL_ZL15dequantize_q8_0PKvliR15HIP_vector_typeIfLj2EEEE6__halfEvS1_PT2_lllS2_IjLj3EElll
		.amdhsa_group_segment_fixed_size 0
		.amdhsa_private_segment_fixed_size 0
		.amdhsa_kernarg_size 336
		.amdhsa_user_sgpr_count 6
		.amdhsa_user_sgpr_private_segment_buffer 1
		.amdhsa_user_sgpr_dispatch_ptr 0
		.amdhsa_user_sgpr_queue_ptr 0
		.amdhsa_user_sgpr_kernarg_segment_ptr 1
		.amdhsa_user_sgpr_dispatch_id 0
		.amdhsa_user_sgpr_flat_scratch_init 0
		.amdhsa_user_sgpr_private_segment_size 0
		.amdhsa_wavefront_size32 1
		.amdhsa_uses_dynamic_stack 0
		.amdhsa_system_sgpr_private_segment_wavefront_offset 0
		.amdhsa_system_sgpr_workgroup_id_x 1
		.amdhsa_system_sgpr_workgroup_id_y 1
		.amdhsa_system_sgpr_workgroup_id_z 1
		.amdhsa_system_sgpr_workgroup_info 0
		.amdhsa_system_vgpr_workitem_id 0
		.amdhsa_next_free_vgpr 11
		.amdhsa_next_free_sgpr 41
		.amdhsa_reserve_vcc 1
		.amdhsa_reserve_flat_scratch 0
		.amdhsa_float_round_mode_32 0
		.amdhsa_float_round_mode_16_64 0
		.amdhsa_float_denorm_mode_32 3
		.amdhsa_float_denorm_mode_16_64 3
		.amdhsa_dx10_clamp 1
		.amdhsa_ieee_mode 1
		.amdhsa_fp16_overflow 0
		.amdhsa_workgroup_processor_mode 1
		.amdhsa_memory_ordered 1
		.amdhsa_forward_progress 1
		.amdhsa_shared_vgpr_count 0
		.amdhsa_exception_fp_ieee_invalid_op 0
		.amdhsa_exception_fp_denorm_src 0
		.amdhsa_exception_fp_ieee_div_zero 0
		.amdhsa_exception_fp_ieee_overflow 0
		.amdhsa_exception_fp_ieee_underflow 0
		.amdhsa_exception_fp_ieee_inexact 0
		.amdhsa_exception_int_div_zero 0
	.end_amdhsa_kernel
	.section	.text._ZL16dequantize_blockILi32ELi1EXadL_ZL15dequantize_q8_0PKvliR15HIP_vector_typeIfLj2EEEE6__halfEvS1_PT2_lllS2_IjLj3EElll,"axG",@progbits,_ZL16dequantize_blockILi32ELi1EXadL_ZL15dequantize_q8_0PKvliR15HIP_vector_typeIfLj2EEEE6__halfEvS1_PT2_lllS2_IjLj3EElll,comdat
.Lfunc_end44:
	.size	_ZL16dequantize_blockILi32ELi1EXadL_ZL15dequantize_q8_0PKvliR15HIP_vector_typeIfLj2EEEE6__halfEvS1_PT2_lllS2_IjLj3EElll, .Lfunc_end44-_ZL16dequantize_blockILi32ELi1EXadL_ZL15dequantize_q8_0PKvliR15HIP_vector_typeIfLj2EEEE6__halfEvS1_PT2_lllS2_IjLj3EElll
                                        ; -- End function
	.set _ZL16dequantize_blockILi32ELi1EXadL_ZL15dequantize_q8_0PKvliR15HIP_vector_typeIfLj2EEEE6__halfEvS1_PT2_lllS2_IjLj3EElll.num_vgpr, 11
	.set _ZL16dequantize_blockILi32ELi1EXadL_ZL15dequantize_q8_0PKvliR15HIP_vector_typeIfLj2EEEE6__halfEvS1_PT2_lllS2_IjLj3EElll.num_agpr, 0
	.set _ZL16dequantize_blockILi32ELi1EXadL_ZL15dequantize_q8_0PKvliR15HIP_vector_typeIfLj2EEEE6__halfEvS1_PT2_lllS2_IjLj3EElll.numbered_sgpr, 41
	.set _ZL16dequantize_blockILi32ELi1EXadL_ZL15dequantize_q8_0PKvliR15HIP_vector_typeIfLj2EEEE6__halfEvS1_PT2_lllS2_IjLj3EElll.num_named_barrier, 0
	.set _ZL16dequantize_blockILi32ELi1EXadL_ZL15dequantize_q8_0PKvliR15HIP_vector_typeIfLj2EEEE6__halfEvS1_PT2_lllS2_IjLj3EElll.private_seg_size, 0
	.set _ZL16dequantize_blockILi32ELi1EXadL_ZL15dequantize_q8_0PKvliR15HIP_vector_typeIfLj2EEEE6__halfEvS1_PT2_lllS2_IjLj3EElll.uses_vcc, 1
	.set _ZL16dequantize_blockILi32ELi1EXadL_ZL15dequantize_q8_0PKvliR15HIP_vector_typeIfLj2EEEE6__halfEvS1_PT2_lllS2_IjLj3EElll.uses_flat_scratch, 0
	.set _ZL16dequantize_blockILi32ELi1EXadL_ZL15dequantize_q8_0PKvliR15HIP_vector_typeIfLj2EEEE6__halfEvS1_PT2_lllS2_IjLj3EElll.has_dyn_sized_stack, 0
	.set _ZL16dequantize_blockILi32ELi1EXadL_ZL15dequantize_q8_0PKvliR15HIP_vector_typeIfLj2EEEE6__halfEvS1_PT2_lllS2_IjLj3EElll.has_recursion, 0
	.set _ZL16dequantize_blockILi32ELi1EXadL_ZL15dequantize_q8_0PKvliR15HIP_vector_typeIfLj2EEEE6__halfEvS1_PT2_lllS2_IjLj3EElll.has_indirect_call, 0
	.section	.AMDGPU.csdata,"",@progbits
; Kernel info:
; codeLenInByte = 772
; TotalNumSgprs: 43
; NumVgprs: 11
; ScratchSize: 0
; MemoryBound: 0
; FloatMode: 240
; IeeeMode: 1
; LDSByteSize: 0 bytes/workgroup (compile time only)
; SGPRBlocks: 0
; VGPRBlocks: 1
; NumSGPRsForWavesPerEU: 43
; NumVGPRsForWavesPerEU: 11
; Occupancy: 16
; WaveLimiterHint : 0
; COMPUTE_PGM_RSRC2:SCRATCH_EN: 0
; COMPUTE_PGM_RSRC2:USER_SGPR: 6
; COMPUTE_PGM_RSRC2:TRAP_HANDLER: 0
; COMPUTE_PGM_RSRC2:TGID_X_EN: 1
; COMPUTE_PGM_RSRC2:TGID_Y_EN: 1
; COMPUTE_PGM_RSRC2:TGID_Z_EN: 1
; COMPUTE_PGM_RSRC2:TIDIG_COMP_CNT: 0
	.section	.text._ZL13convert_unaryI14__hip_bfloat166__halfEvPKvPT0_lll15HIP_vector_typeIjLj3EElll,"axG",@progbits,_ZL13convert_unaryI14__hip_bfloat166__halfEvPKvPT0_lll15HIP_vector_typeIjLj3EElll,comdat
	.globl	_ZL13convert_unaryI14__hip_bfloat166__halfEvPKvPT0_lll15HIP_vector_typeIjLj3EElll ; -- Begin function _ZL13convert_unaryI14__hip_bfloat166__halfEvPKvPT0_lll15HIP_vector_typeIjLj3EElll
	.p2align	8
	.type	_ZL13convert_unaryI14__hip_bfloat166__halfEvPKvPT0_lll15HIP_vector_typeIjLj3EElll,@function
_ZL13convert_unaryI14__hip_bfloat166__halfEvPKvPT0_lll15HIP_vector_typeIjLj3EElll: ; @_ZL13convert_unaryI14__hip_bfloat166__halfEvPKvPT0_lll15HIP_vector_typeIjLj3EElll
; %bb.0:
	s_mov_b32 s10, s7
	s_clause 0x1
	s_load_dword s7, s[4:5], 0x5c
	s_load_dwordx4 s[0:3], s[4:5], 0x10
	v_mov_b32_e32 v1, 0
	s_add_u32 s24, s4, 0x50
	s_addc_u32 s25, s5, 0
	s_waitcnt lgkmcnt(0)
	s_and_b32 s7, s7, 0xffff
	v_mad_u64_u32 v[0:1], null, s7, s6, v[0:1]
	s_mov_b32 s6, exec_lo
	v_cmpx_gt_i64_e64 s[0:1], v[0:1]
	s_cbranch_execz .LBB45_16
; %bb.1:
	s_load_dwordx2 s[6:7], s[4:5], 0x20
	s_mov_b32 s11, 0
	v_cmp_le_i64_e64 s9, s[2:3], s[10:11]
	s_and_b32 vcc_lo, exec_lo, s9
	s_cbranch_vccnz .LBB45_16
; %bb.2:
	s_clause 0x2
	s_load_dwordx4 s[20:23], s[4:5], 0x0
	s_load_dwordx8 s[12:19], s[4:5], 0x28
	s_load_dwordx2 s[4:5], s[4:5], 0x48
	s_waitcnt lgkmcnt(0)
	s_load_dword s15, s[24:25], 0x4
	v_lshlrev_b64 v[0:1], 1, v[0:1]
	s_mov_b32 s9, s11
	s_mul_i32 s27, s3, s0
	v_cmp_gt_i64_e64 s60, s[6:7], s[8:9]
	s_mov_b32 s54, s0
	s_mov_b32 s55, s1
	s_mov_b32 s56, s0
	s_mov_b32 s57, s1
	s_mov_b32 s50, s2
	s_mov_b32 s51, s3
	s_mov_b32 s52, s2
	s_mov_b32 s53, s3
	s_mov_b32 s58, s8
	s_mov_b32 s59, s11
	s_mov_b64 s[28:29], s[10:11]
	v_add_co_u32 v2, vcc_lo, s22, v0
	v_add_co_ci_u32_e64 v3, null, s23, v1, vcc_lo
	s_mul_i32 s22, s2, s1
	s_mul_hi_u32 s23, s2, s0
	s_mov_b32 s33, s12
	s_add_i32 s26, s23, s22
	s_lshl_b64 s[22:23], s[0:1], 1
	s_add_i32 s1, s26, s27
	s_mul_i32 s0, s2, s0
	s_mov_b32 s40, s12
	s_mov_b32 s41, s13
	;; [unrolled: 1-line block ×10, first 2 shown]
	s_lshl_b64 s[26:27], s[0:1], 1
	s_sub_i32 s61, 0, s14
	s_branch .LBB45_4
.LBB45_3:                               ;   in Loop: Header=BB45_4 Depth=1
	s_inst_prefetch 0x2
	s_waitcnt lgkmcnt(0)
	s_add_u32 s28, s28, s15
	s_addc_u32 s29, s29, 0
	v_cmp_ge_i64_e64 s0, s[28:29], s[2:3]
	s_and_b32 vcc_lo, exec_lo, s0
	s_cbranch_vccnz .LBB45_16
.LBB45_4:                               ; =>This Loop Header: Depth=1
                                        ;     Child Loop BB45_10 Depth 2
                                        ;     Child Loop BB45_14 Depth 2
	s_andn2_b32 vcc_lo, exec_lo, s60
	s_cbranch_vccnz .LBB45_3
; %bb.5:                                ;   in Loop: Header=BB45_4 Depth=1
	s_load_dword s10, s[24:25], 0x8
	s_waitcnt lgkmcnt(0)
	s_add_u32 s0, s8, s10
	s_addc_u32 s1, 0, 0
	v_cmp_gt_i64_e64 s30, s[6:7], s[0:1]
	v_cndmask_b32_e64 v4, 0, 1, s30
	s_and_b32 s34, s30, exec_lo
	s_cselect_b32 s34, s6, s0
	s_cselect_b32 s35, s7, s1
	v_readfirstlane_b32 s31, v4
	s_sub_u32 s31, s34, s31
	s_subb_u32 s34, s35, 0
	s_sub_u32 s31, s31, s0
	s_subb_u32 s1, s34, s1
	s_mov_b32 s0, s11
	s_cmp_lg_u64 s[0:1], 0
	s_cbranch_scc0 .LBB45_15
; %bb.6:                                ;   in Loop: Header=BB45_4 Depth=1
	v_cvt_f32_u32_e32 v4, s10
	s_sub_u32 s35, 0, s10
	s_subb_u32 s36, 0, 0
	v_fmac_f32_e64 v4, 0x4f800000, 0
	v_rcp_f32_e32 v4, v4
	v_mul_f32_e32 v4, 0x5f7ffffc, v4
	v_mul_f32_e32 v5, 0x2f800000, v4
	v_trunc_f32_e32 v5, v5
	v_fmac_f32_e32 v4, 0xcf800000, v5
	v_cvt_u32_f32_e32 v5, v5
	v_cvt_u32_f32_e32 v4, v4
	v_readfirstlane_b32 s0, v5
	v_readfirstlane_b32 s34, v4
	s_mul_i32 s37, s35, s0
	s_mul_hi_u32 s39, s35, s34
	s_mul_i32 s38, s36, s34
	s_add_i32 s37, s39, s37
	s_mul_i32 s62, s35, s34
	s_add_i32 s37, s37, s38
	s_mul_hi_u32 s39, s34, s62
	s_mul_i32 s64, s34, s37
	s_mul_hi_u32 s63, s0, s62
	s_mul_i32 s38, s0, s62
	s_mul_hi_u32 s62, s34, s37
	s_add_u32 s39, s39, s64
	s_addc_u32 s62, 0, s62
	s_mul_hi_u32 s65, s0, s37
	s_add_u32 s38, s39, s38
	s_mul_i32 s37, s0, s37
	s_addc_u32 s38, s62, s63
	s_addc_u32 s39, s65, 0
	s_add_u32 s37, s38, s37
	s_addc_u32 s38, 0, s39
	s_add_u32 s34, s34, s37
	s_cselect_b32 s37, -1, 0
	s_mul_hi_u32 s39, s35, s34
	s_cmp_lg_u32 s37, 0
	s_mul_i32 s37, s35, s34
	s_addc_u32 s0, s0, s38
	s_mul_i32 s36, s36, s34
	s_mul_i32 s35, s35, s0
	s_mul_hi_u32 s38, s34, s37
	s_add_i32 s35, s39, s35
	s_mul_hi_u32 s39, s0, s37
	s_add_i32 s35, s35, s36
	s_mul_i32 s36, s0, s37
	s_mul_i32 s63, s34, s35
	s_mul_hi_u32 s62, s34, s35
	s_add_u32 s38, s38, s63
	s_addc_u32 s62, 0, s62
	s_mul_hi_u32 s37, s0, s35
	s_add_u32 s36, s38, s36
	s_mul_i32 s35, s0, s35
	s_addc_u32 s36, s62, s39
	s_addc_u32 s37, s37, 0
	s_add_u32 s35, s36, s35
	s_addc_u32 s36, 0, s37
	s_add_u32 s34, s34, s35
	s_cselect_b32 s35, -1, 0
	s_mul_hi_u32 s37, s31, s34
	s_cmp_lg_u32 s35, 0
	s_mul_hi_u32 s35, s1, s34
	s_addc_u32 s0, s0, s36
	s_mul_i32 s34, s1, s34
	s_mul_i32 s38, s31, s0
	s_mul_hi_u32 s36, s31, s0
	s_add_u32 s37, s37, s38
	s_addc_u32 s36, 0, s36
	s_mul_hi_u32 s39, s1, s0
	s_add_u32 s34, s37, s34
	s_mul_i32 s0, s1, s0
	s_addc_u32 s34, s36, s35
	s_addc_u32 s35, s39, 0
	s_add_u32 s0, s34, s0
	s_addc_u32 s34, 0, s35
	s_add_u32 s35, s0, 1
	s_mul_hi_u32 s36, s10, s0
	s_addc_u32 s38, s34, 0
	s_mul_i32 s39, s10, s34
	s_mul_i32 s37, s10, s0
	s_add_u32 s62, s0, 2
	s_addc_u32 s63, s34, 0
	s_add_i32 s36, s36, s39
	s_sub_u32 s37, s31, s37
	s_cselect_b32 s39, -1, 0
	s_cmp_lg_u32 s39, 0
	s_subb_u32 s1, s1, s36
	s_sub_u32 s36, s37, s10
	s_cselect_b32 s39, -1, 0
	s_cmp_lg_u32 s39, 0
	s_subb_u32 s39, s1, 0
	s_cmp_ge_u32 s36, s10
	s_cselect_b32 s36, -1, 0
	s_cmp_eq_u32 s39, 0
	s_cselect_b32 s36, s36, -1
	s_cmp_lg_u32 s36, 0
	s_cselect_b32 s35, s62, s35
	s_cselect_b32 s36, s63, s38
	s_cmp_ge_u32 s37, s10
	s_cselect_b32 s37, -1, 0
	s_cmp_eq_u32 s1, 0
	s_cselect_b32 s1, s37, -1
	s_cmp_lg_u32 s1, 0
	s_cselect_b32 s1, s36, s34
	s_cselect_b32 s0, s35, s0
	s_cbranch_execnz .LBB45_8
.LBB45_7:                               ;   in Loop: Header=BB45_4 Depth=1
	v_cvt_f32_u32_e32 v4, s10
	s_sub_i32 s1, 0, s10
	v_rcp_iflag_f32_e32 v4, v4
	v_mul_f32_e32 v4, 0x4f7ffffe, v4
	v_cvt_u32_f32_e32 v4, v4
	v_readfirstlane_b32 s0, v4
	s_mul_i32 s1, s1, s0
	s_mul_hi_u32 s1, s0, s1
	s_add_i32 s0, s0, s1
	s_mul_hi_u32 s0, s31, s0
	s_mul_i32 s1, s0, s10
	s_sub_i32 s1, s31, s1
	s_add_i32 s31, s0, 1
	s_sub_i32 s34, s1, s10
	s_cmp_ge_u32 s1, s10
	s_cselect_b32 s0, s31, s0
	s_cselect_b32 s1, s34, s1
	s_add_i32 s31, s0, 1
	s_cmp_ge_u32 s1, s10
	s_mov_b32 s1, s11
	s_cselect_b32 s0, s31, s0
.LBB45_8:                               ;   in Loop: Header=BB45_4 Depth=1
	s_mul_i32 s31, s28, s17
	s_mul_hi_u32 s34, s28, s16
	s_mov_b64 s[36:37], s[8:9]
	s_add_i32 s31, s34, s31
	s_mul_i32 s34, s29, s16
	s_add_i32 s31, s31, s34
	s_and_b32 s30, s30, exec_lo
	s_cselect_b32 s30, 2, 1
	s_mov_b32 s34, -1
	s_add_u32 s0, s30, s0
	s_addc_u32 s1, 0, s1
	s_mul_i32 s30, s28, s16
	v_cmp_lt_u64_e64 s35, s[0:1], 2
	s_and_b32 vcc_lo, exec_lo, s35
	s_cbranch_vccnz .LBB45_12
; %bb.9:                                ;   in Loop: Header=BB45_4 Depth=1
	s_and_b32 s34, s0, -2
	s_add_u32 s64, s8, s10
	s_mov_b32 s35, s1
	s_addc_u32 s65, 0, 0
	s_lshl_b64 s[36:37], s[10:11], 1
	s_mov_b32 s62, s28
	s_mov_b32 s63, s29
	;; [unrolled: 1-line block ×6, first 2 shown]
	s_mov_b64 s[38:39], s[34:35]
.LBB45_10:                              ;   Parent Loop BB45_4 Depth=1
                                        ; =>  This Inner Loop Header: Depth=2
	s_mul_hi_u32 s70, s66, s33
	s_mul_hi_u32 s71, s64, s40
	s_mul_i32 s72, s64, s53
	s_mul_hi_u32 s73, s64, s52
	s_mul_i32 s75, s66, s51
	s_mul_hi_u32 s76, s66, s50
	s_add_i32 s71, s71, s64
	s_add_i32 s70, s70, s66
	s_mul_i32 s77, s67, s50
	s_add_i32 s72, s73, s72
	s_add_i32 s73, s76, s75
	s_lshr_b32 s75, s70, s41
	s_lshr_b32 s70, s71, s42
	s_mul_i32 s74, s65, s52
	s_add_i32 s81, s73, s77
	s_mul_i32 s71, s70, s43
	s_mul_i32 s73, s75, s14
	s_add_i32 s80, s72, s74
	s_mul_i32 s74, s45, s70
	s_mul_hi_u32 s76, s44, s70
	s_mul_i32 s77, s5, s75
	s_mul_hi_u32 s82, s4, s75
	s_mul_i32 s72, s4, s75
	s_sub_i32 s75, s66, s73
	s_sub_i32 s83, s64, s71
	s_add_i32 s71, s76, s74
	s_add_i32 s73, s82, s77
	s_mul_i32 s77, s49, s83
	s_mul_hi_u32 s82, s48, s83
	s_mul_i32 s74, s48, s83
	s_mul_i32 s83, s47, s75
	s_mul_hi_u32 s84, s46, s75
	s_mul_i32 s79, s66, s50
	s_mul_i32 s76, s46, s75
	s_add_i32 s75, s82, s77
	s_add_i32 s77, s84, s83
	s_mul_i32 s78, s64, s52
	s_add_u32 s82, s79, s28
	s_addc_u32 s79, s81, s29
	s_add_u32 s83, s78, s62
	s_mul_i32 s78, s82, s55
	s_mul_hi_u32 s81, s82, s54
	s_addc_u32 s80, s80, s63
	s_mul_i32 s84, s83, s57
	s_mul_hi_u32 s85, s83, s56
	s_mul_i32 s79, s79, s54
	s_add_i32 s78, s81, s78
	s_mul_i32 s80, s80, s56
	s_add_i32 s81, s85, s84
	s_lshl_b64 s[72:73], s[72:73], 1
	s_mul_i32 s70, s44, s70
	s_add_i32 s79, s78, s79
	s_add_i32 s81, s81, s80
	s_add_u32 s72, s20, s72
	s_addc_u32 s73, s21, s73
	s_lshl_b64 s[70:71], s[70:71], 1
	s_add_u32 s78, s20, s70
	s_addc_u32 s80, s21, s71
	s_lshl_b64 s[70:71], s[76:77], 1
	;; [unrolled: 3-line block ×4, first 2 shown]
	s_mul_i32 s78, s82, s54
	s_add_u32 s72, s72, s70
	s_addc_u32 s73, s73, s71
	s_add_u32 s70, s74, s70
	v_add_co_u32 v4, vcc_lo, s72, v0
	s_addc_u32 s71, s75, s71
	v_add_co_ci_u32_e64 v5, null, s73, v1, vcc_lo
	v_add_co_u32 v6, vcc_lo, s70, v0
	v_add_co_ci_u32_e64 v7, null, s71, v1, vcc_lo
	s_clause 0x1
	global_load_ushort v8, v[4:5], off
	global_load_ushort v9, v[6:7], off
	s_mul_i32 s80, s83, s56
	s_lshl_b64 s[70:71], s[78:79], 1
	s_lshl_b64 s[72:73], s[80:81], 1
	s_add_u32 s64, s64, s68
	v_add_co_u32 v4, vcc_lo, v2, s70
	s_addc_u32 s65, s65, s69
	s_add_u32 s66, s66, s36
	v_add_co_ci_u32_e64 v5, null, s71, v3, vcc_lo
	v_add_co_u32 v6, vcc_lo, v2, s72
	s_addc_u32 s67, s67, s37
	s_add_u32 s38, s38, -2
	v_add_co_ci_u32_e64 v7, null, s73, v3, vcc_lo
	s_addc_u32 s39, s39, -1
	s_cmp_lg_u64 s[38:39], 0
	s_waitcnt vmcnt(1)
	v_lshlrev_b32_e32 v8, 16, v8
	s_waitcnt vmcnt(0)
	v_lshlrev_b32_e32 v9, 16, v9
	v_cvt_f16_f32_e32 v8, v8
	v_cvt_f16_f32_e32 v9, v9
	global_store_short v[4:5], v8, off
	global_store_short v[6:7], v9, off
	s_cbranch_scc1 .LBB45_10
; %bb.11:                               ;   in Loop: Header=BB45_4 Depth=1
	s_mul_i32 s36, s35, s10
	s_mul_hi_u32 s37, s34, s10
	s_mul_i32 s38, s34, s10
	s_add_i32 s37, s37, s36
	s_add_u32 s36, s38, s8
	s_addc_u32 s37, s37, 0
	s_cmp_lg_u64 s[0:1], s[34:35]
	s_cselect_b32 s34, -1, 0
.LBB45_12:                              ;   in Loop: Header=BB45_4 Depth=1
	s_and_b32 vcc_lo, exec_lo, s34
	s_cbranch_vccz .LBB45_3
; %bb.13:                               ;   in Loop: Header=BB45_4 Depth=1
	s_mul_i32 s0, s2, s37
	s_mul_hi_u32 s1, s2, s36
	s_mul_i32 s34, s2, s36
	s_add_i32 s0, s1, s0
	s_mul_i32 s1, s3, s36
	s_add_i32 s0, s0, s1
	s_add_u32 s1, s28, s34
	s_addc_u32 s0, s29, s0
	v_mad_u64_u32 v[4:5], null, s22, s1, v[2:3]
	s_mul_i32 s1, s23, s1
	s_mul_i32 s0, s22, s0
	;; [unrolled: 1-line block ×3, first 2 shown]
	v_add3_u32 v5, s0, s1, v5
	s_mul_hi_u32 s0, s26, s10
	s_add_i32 s1, s0, s34
	s_mul_i32 s34, s26, s10
	s_inst_prefetch 0x1
	.p2align	6
.LBB45_14:                              ;   Parent Loop BB45_4 Depth=1
                                        ; =>  This Inner Loop Header: Depth=2
	s_mul_hi_u32 s0, s12, s36
	s_add_i32 s0, s36, s0
	s_lshr_b32 s0, s0, s13
	s_mul_i32 s35, s61, s0
	s_mul_i32 s39, s5, s0
	s_mul_hi_u32 s62, s4, s0
	s_mul_i32 s38, s4, s0
	s_add_i32 s0, s36, s35
	s_add_i32 s39, s62, s39
	s_mul_i32 s35, s19, s0
	s_mul_hi_u32 s63, s18, s0
	s_lshl_b64 s[38:39], s[38:39], 1
	s_mul_i32 s62, s18, s0
	s_add_i32 s63, s63, s35
	s_add_u32 s0, s20, s38
	s_addc_u32 s35, s21, s39
	s_lshl_b64 s[38:39], s[62:63], 1
	s_add_u32 s0, s0, s38
	s_addc_u32 s35, s35, s39
	s_lshl_b64 s[38:39], s[30:31], 1
	s_add_u32 s0, s0, s38
	s_addc_u32 s35, s35, s39
	v_add_co_u32 v6, vcc_lo, s0, v0
	v_add_co_ci_u32_e64 v7, null, s35, v1, vcc_lo
	s_add_u32 s36, s36, s10
	s_addc_u32 s37, s37, 0
	global_load_ushort v6, v[6:7], off
	v_cmp_ge_i64_e64 s0, s[36:37], s[6:7]
	s_and_b32 vcc_lo, exec_lo, s0
	s_waitcnt vmcnt(0)
	v_lshlrev_b32_e32 v6, 16, v6
	v_cvt_f16_f32_e32 v6, v6
	global_store_short v[4:5], v6, off
	v_add_co_u32 v4, s0, v4, s34
	v_add_co_ci_u32_e64 v5, null, s1, v5, s0
	s_cbranch_vccz .LBB45_14
	s_branch .LBB45_3
.LBB45_15:                              ;   in Loop: Header=BB45_4 Depth=1
                                        ; implicit-def: $sgpr0_sgpr1
	s_branch .LBB45_7
.LBB45_16:
	s_endpgm
	.section	.rodata,"a",@progbits
	.p2align	6, 0x0
	.amdhsa_kernel _ZL13convert_unaryI14__hip_bfloat166__halfEvPKvPT0_lll15HIP_vector_typeIjLj3EElll
		.amdhsa_group_segment_fixed_size 0
		.amdhsa_private_segment_fixed_size 0
		.amdhsa_kernarg_size 336
		.amdhsa_user_sgpr_count 6
		.amdhsa_user_sgpr_private_segment_buffer 1
		.amdhsa_user_sgpr_dispatch_ptr 0
		.amdhsa_user_sgpr_queue_ptr 0
		.amdhsa_user_sgpr_kernarg_segment_ptr 1
		.amdhsa_user_sgpr_dispatch_id 0
		.amdhsa_user_sgpr_flat_scratch_init 0
		.amdhsa_user_sgpr_private_segment_size 0
		.amdhsa_wavefront_size32 1
		.amdhsa_uses_dynamic_stack 0
		.amdhsa_system_sgpr_private_segment_wavefront_offset 0
		.amdhsa_system_sgpr_workgroup_id_x 1
		.amdhsa_system_sgpr_workgroup_id_y 1
		.amdhsa_system_sgpr_workgroup_id_z 1
		.amdhsa_system_sgpr_workgroup_info 0
		.amdhsa_system_vgpr_workitem_id 0
		.amdhsa_next_free_vgpr 10
		.amdhsa_next_free_sgpr 86
		.amdhsa_reserve_vcc 1
		.amdhsa_reserve_flat_scratch 0
		.amdhsa_float_round_mode_32 0
		.amdhsa_float_round_mode_16_64 0
		.amdhsa_float_denorm_mode_32 3
		.amdhsa_float_denorm_mode_16_64 3
		.amdhsa_dx10_clamp 1
		.amdhsa_ieee_mode 1
		.amdhsa_fp16_overflow 0
		.amdhsa_workgroup_processor_mode 1
		.amdhsa_memory_ordered 1
		.amdhsa_forward_progress 1
		.amdhsa_shared_vgpr_count 0
		.amdhsa_exception_fp_ieee_invalid_op 0
		.amdhsa_exception_fp_denorm_src 0
		.amdhsa_exception_fp_ieee_div_zero 0
		.amdhsa_exception_fp_ieee_overflow 0
		.amdhsa_exception_fp_ieee_underflow 0
		.amdhsa_exception_fp_ieee_inexact 0
		.amdhsa_exception_int_div_zero 0
	.end_amdhsa_kernel
	.section	.text._ZL13convert_unaryI14__hip_bfloat166__halfEvPKvPT0_lll15HIP_vector_typeIjLj3EElll,"axG",@progbits,_ZL13convert_unaryI14__hip_bfloat166__halfEvPKvPT0_lll15HIP_vector_typeIjLj3EElll,comdat
.Lfunc_end45:
	.size	_ZL13convert_unaryI14__hip_bfloat166__halfEvPKvPT0_lll15HIP_vector_typeIjLj3EElll, .Lfunc_end45-_ZL13convert_unaryI14__hip_bfloat166__halfEvPKvPT0_lll15HIP_vector_typeIjLj3EElll
                                        ; -- End function
	.set _ZL13convert_unaryI14__hip_bfloat166__halfEvPKvPT0_lll15HIP_vector_typeIjLj3EElll.num_vgpr, 10
	.set _ZL13convert_unaryI14__hip_bfloat166__halfEvPKvPT0_lll15HIP_vector_typeIjLj3EElll.num_agpr, 0
	.set _ZL13convert_unaryI14__hip_bfloat166__halfEvPKvPT0_lll15HIP_vector_typeIjLj3EElll.numbered_sgpr, 86
	.set _ZL13convert_unaryI14__hip_bfloat166__halfEvPKvPT0_lll15HIP_vector_typeIjLj3EElll.num_named_barrier, 0
	.set _ZL13convert_unaryI14__hip_bfloat166__halfEvPKvPT0_lll15HIP_vector_typeIjLj3EElll.private_seg_size, 0
	.set _ZL13convert_unaryI14__hip_bfloat166__halfEvPKvPT0_lll15HIP_vector_typeIjLj3EElll.uses_vcc, 1
	.set _ZL13convert_unaryI14__hip_bfloat166__halfEvPKvPT0_lll15HIP_vector_typeIjLj3EElll.uses_flat_scratch, 0
	.set _ZL13convert_unaryI14__hip_bfloat166__halfEvPKvPT0_lll15HIP_vector_typeIjLj3EElll.has_dyn_sized_stack, 0
	.set _ZL13convert_unaryI14__hip_bfloat166__halfEvPKvPT0_lll15HIP_vector_typeIjLj3EElll.has_recursion, 0
	.set _ZL13convert_unaryI14__hip_bfloat166__halfEvPKvPT0_lll15HIP_vector_typeIjLj3EElll.has_indirect_call, 0
	.section	.AMDGPU.csdata,"",@progbits
; Kernel info:
; codeLenInByte = 1848
; TotalNumSgprs: 88
; NumVgprs: 10
; ScratchSize: 0
; MemoryBound: 0
; FloatMode: 240
; IeeeMode: 1
; LDSByteSize: 0 bytes/workgroup (compile time only)
; SGPRBlocks: 0
; VGPRBlocks: 1
; NumSGPRsForWavesPerEU: 88
; NumVGPRsForWavesPerEU: 10
; Occupancy: 16
; WaveLimiterHint : 0
; COMPUTE_PGM_RSRC2:SCRATCH_EN: 0
; COMPUTE_PGM_RSRC2:USER_SGPR: 6
; COMPUTE_PGM_RSRC2:TRAP_HANDLER: 0
; COMPUTE_PGM_RSRC2:TGID_X_EN: 1
; COMPUTE_PGM_RSRC2:TGID_Y_EN: 1
; COMPUTE_PGM_RSRC2:TGID_Z_EN: 1
; COMPUTE_PGM_RSRC2:TIDIG_COMP_CNT: 0
	.section	.text._ZL13convert_unaryIf14__hip_bfloat16EvPKvPT0_lll15HIP_vector_typeIjLj3EElll,"axG",@progbits,_ZL13convert_unaryIf14__hip_bfloat16EvPKvPT0_lll15HIP_vector_typeIjLj3EElll,comdat
	.globl	_ZL13convert_unaryIf14__hip_bfloat16EvPKvPT0_lll15HIP_vector_typeIjLj3EElll ; -- Begin function _ZL13convert_unaryIf14__hip_bfloat16EvPKvPT0_lll15HIP_vector_typeIjLj3EElll
	.p2align	8
	.type	_ZL13convert_unaryIf14__hip_bfloat16EvPKvPT0_lll15HIP_vector_typeIjLj3EElll,@function
_ZL13convert_unaryIf14__hip_bfloat16EvPKvPT0_lll15HIP_vector_typeIjLj3EElll: ; @_ZL13convert_unaryIf14__hip_bfloat16EvPKvPT0_lll15HIP_vector_typeIjLj3EElll
; %bb.0:
	s_mov_b32 s10, s7
	s_clause 0x1
	s_load_dword s7, s[4:5], 0x5c
	s_load_dwordx4 s[0:3], s[4:5], 0x10
	v_mov_b32_e32 v1, 0
	s_add_u32 s24, s4, 0x50
	s_addc_u32 s25, s5, 0
	s_waitcnt lgkmcnt(0)
	s_and_b32 s7, s7, 0xffff
	v_mad_u64_u32 v[2:3], null, s7, s6, v[0:1]
	s_mov_b32 s6, exec_lo
	v_cmpx_gt_i64_e64 s[0:1], v[2:3]
	s_cbranch_execz .LBB46_7
; %bb.1:
	s_load_dwordx2 s[6:7], s[4:5], 0x20
	s_mov_b32 s11, 0
	v_cmp_le_i64_e64 s9, s[2:3], s[10:11]
	s_and_b32 vcc_lo, exec_lo, s9
	s_cbranch_vccnz .LBB46_7
; %bb.2:
	s_clause 0x2
	s_load_dwordx4 s[20:23], s[4:5], 0x0
	s_load_dwordx8 s[12:19], s[4:5], 0x28
	s_load_dwordx2 s[4:5], s[4:5], 0x48
	s_load_dword s30, s[24:25], 0x4
	s_mul_i32 s9, s3, s8
	s_waitcnt lgkmcnt(0)
	s_mul_hi_u32 s15, s2, s8
	s_mul_i32 s26, s2, s8
	s_add_i32 s15, s15, s9
	s_add_u32 s9, s26, s10
	s_addc_u32 s15, s15, 0
	s_mul_hi_u32 s26, s0, s9
	s_mul_i32 s15, s0, s15
	s_mul_i32 s27, s1, s9
	s_add_i32 s15, s26, s15
	s_mul_i32 s26, s0, s9
	s_add_i32 s27, s15, s27
	v_lshlrev_b64 v[0:1], 1, v[2:3]
	s_lshl_b64 s[26:27], s[26:27], 1
	s_mov_b32 s9, s11
	v_lshlrev_b64 v[2:3], 2, v[2:3]
	s_add_u32 s15, s22, s26
	s_addc_u32 s22, s23, s27
	v_add_co_u32 v0, vcc_lo, s15, v0
	v_add_co_ci_u32_e64 v1, null, s22, v1, vcc_lo
	s_mul_i32 s15, s1, s30
	s_mul_hi_u32 s22, s0, s30
	s_mul_i32 s1, s2, s1
	s_mul_hi_u32 s26, s2, s0
	s_add_i32 s23, s22, s15
	s_add_i32 s1, s26, s1
	s_mul_i32 s15, s3, s0
	s_mul_i32 s22, s0, s30
	s_add_i32 s27, s1, s15
	v_cmp_gt_i64_e64 s1, s[6:7], s[8:9]
	s_mul_i32 s26, s2, s0
	s_lshl_b64 s[22:23], s[22:23], 1
	s_lshl_b64 s[26:27], s[26:27], 1
	s_sub_i32 s31, 0, s14
	s_branch .LBB46_4
.LBB46_3:                               ;   in Loop: Header=BB46_4 Depth=1
	s_add_u32 s10, s10, s30
	s_addc_u32 s11, s11, 0
	v_add_co_u32 v0, vcc_lo, v0, s22
	v_cmp_ge_i64_e64 s0, s[10:11], s[2:3]
	v_add_co_ci_u32_e64 v1, null, s23, v1, vcc_lo
	s_and_b32 vcc_lo, exec_lo, s0
	s_cbranch_vccnz .LBB46_7
.LBB46_4:                               ; =>This Loop Header: Depth=1
                                        ;     Child Loop BB46_6 Depth 2
	s_andn2_b32 vcc_lo, exec_lo, s1
	s_cbranch_vccnz .LBB46_3
; %bb.5:                                ;   in Loop: Header=BB46_4 Depth=1
	s_load_dword s33, s[24:25], 0x8
	s_mul_i32 s0, s10, s17
	s_mul_hi_u32 s14, s10, s16
	s_mul_i32 s15, s11, s16
	s_add_i32 s0, s14, s0
	v_mov_b32_e32 v5, v1
	v_mov_b32_e32 v4, v0
	s_mul_i32 s14, s10, s16
	s_add_i32 s15, s0, s15
	s_lshl_b64 s[14:15], s[14:15], 2
	s_waitcnt lgkmcnt(0)
	s_mul_i32 s0, s27, s33
	s_mul_hi_u32 s28, s26, s33
	s_mul_i32 s34, s26, s33
	s_add_i32 s35, s28, s0
	s_mov_b64 s[28:29], s[8:9]
.LBB46_6:                               ;   Parent Loop BB46_4 Depth=1
                                        ; =>  This Inner Loop Header: Depth=2
	s_mul_hi_u32 s0, s12, s28
	s_add_i32 s0, s28, s0
	s_lshr_b32 s0, s0, s13
	s_mul_i32 s37, s31, s0
	s_mul_i32 s38, s5, s0
	s_mul_hi_u32 s39, s4, s0
	s_mul_i32 s36, s4, s0
	s_add_i32 s0, s28, s37
	s_add_i32 s37, s39, s38
	s_mul_i32 s39, s19, s0
	s_mul_hi_u32 s40, s18, s0
	s_lshl_b64 s[36:37], s[36:37], 2
	s_mul_i32 s38, s18, s0
	s_add_i32 s39, s40, s39
	s_add_u32 s0, s20, s36
	s_addc_u32 s40, s21, s37
	s_lshl_b64 s[36:37], s[38:39], 2
	s_add_u32 s0, s0, s36
	s_addc_u32 s36, s40, s37
	s_add_u32 s0, s0, s14
	s_addc_u32 s36, s36, s15
	v_add_co_u32 v6, vcc_lo, s0, v2
	v_add_co_ci_u32_e64 v7, null, s36, v3, vcc_lo
	s_add_u32 s28, s28, s33
	s_addc_u32 s29, s29, 0
	global_load_dword v6, v[6:7], off
	v_cmp_ge_i64_e64 s0, s[28:29], s[6:7]
	s_and_b32 vcc_lo, exec_lo, s0
	s_waitcnt vmcnt(0)
	v_bfe_u32 v7, v6, 16, 1
	v_or_b32_e32 v8, 0x400000, v6
	v_cmp_u_f32_e64 s0, v6, v6
	v_add3_u32 v7, v7, v6, 0x7fff
	v_cndmask_b32_e64 v6, v7, v8, s0
	global_store_short_d16_hi v[4:5], v6, off
	v_add_co_u32 v4, s0, v4, s34
	v_add_co_ci_u32_e64 v5, null, s35, v5, s0
	s_cbranch_vccz .LBB46_6
	s_branch .LBB46_3
.LBB46_7:
	s_endpgm
	.section	.rodata,"a",@progbits
	.p2align	6, 0x0
	.amdhsa_kernel _ZL13convert_unaryIf14__hip_bfloat16EvPKvPT0_lll15HIP_vector_typeIjLj3EElll
		.amdhsa_group_segment_fixed_size 0
		.amdhsa_private_segment_fixed_size 0
		.amdhsa_kernarg_size 336
		.amdhsa_user_sgpr_count 6
		.amdhsa_user_sgpr_private_segment_buffer 1
		.amdhsa_user_sgpr_dispatch_ptr 0
		.amdhsa_user_sgpr_queue_ptr 0
		.amdhsa_user_sgpr_kernarg_segment_ptr 1
		.amdhsa_user_sgpr_dispatch_id 0
		.amdhsa_user_sgpr_flat_scratch_init 0
		.amdhsa_user_sgpr_private_segment_size 0
		.amdhsa_wavefront_size32 1
		.amdhsa_uses_dynamic_stack 0
		.amdhsa_system_sgpr_private_segment_wavefront_offset 0
		.amdhsa_system_sgpr_workgroup_id_x 1
		.amdhsa_system_sgpr_workgroup_id_y 1
		.amdhsa_system_sgpr_workgroup_id_z 1
		.amdhsa_system_sgpr_workgroup_info 0
		.amdhsa_system_vgpr_workitem_id 0
		.amdhsa_next_free_vgpr 9
		.amdhsa_next_free_sgpr 41
		.amdhsa_reserve_vcc 1
		.amdhsa_reserve_flat_scratch 0
		.amdhsa_float_round_mode_32 0
		.amdhsa_float_round_mode_16_64 0
		.amdhsa_float_denorm_mode_32 3
		.amdhsa_float_denorm_mode_16_64 3
		.amdhsa_dx10_clamp 1
		.amdhsa_ieee_mode 1
		.amdhsa_fp16_overflow 0
		.amdhsa_workgroup_processor_mode 1
		.amdhsa_memory_ordered 1
		.amdhsa_forward_progress 1
		.amdhsa_shared_vgpr_count 0
		.amdhsa_exception_fp_ieee_invalid_op 0
		.amdhsa_exception_fp_denorm_src 0
		.amdhsa_exception_fp_ieee_div_zero 0
		.amdhsa_exception_fp_ieee_overflow 0
		.amdhsa_exception_fp_ieee_underflow 0
		.amdhsa_exception_fp_ieee_inexact 0
		.amdhsa_exception_int_div_zero 0
	.end_amdhsa_kernel
	.section	.text._ZL13convert_unaryIf14__hip_bfloat16EvPKvPT0_lll15HIP_vector_typeIjLj3EElll,"axG",@progbits,_ZL13convert_unaryIf14__hip_bfloat16EvPKvPT0_lll15HIP_vector_typeIjLj3EElll,comdat
.Lfunc_end46:
	.size	_ZL13convert_unaryIf14__hip_bfloat16EvPKvPT0_lll15HIP_vector_typeIjLj3EElll, .Lfunc_end46-_ZL13convert_unaryIf14__hip_bfloat16EvPKvPT0_lll15HIP_vector_typeIjLj3EElll
                                        ; -- End function
	.set _ZL13convert_unaryIf14__hip_bfloat16EvPKvPT0_lll15HIP_vector_typeIjLj3EElll.num_vgpr, 9
	.set _ZL13convert_unaryIf14__hip_bfloat16EvPKvPT0_lll15HIP_vector_typeIjLj3EElll.num_agpr, 0
	.set _ZL13convert_unaryIf14__hip_bfloat16EvPKvPT0_lll15HIP_vector_typeIjLj3EElll.numbered_sgpr, 41
	.set _ZL13convert_unaryIf14__hip_bfloat16EvPKvPT0_lll15HIP_vector_typeIjLj3EElll.num_named_barrier, 0
	.set _ZL13convert_unaryIf14__hip_bfloat16EvPKvPT0_lll15HIP_vector_typeIjLj3EElll.private_seg_size, 0
	.set _ZL13convert_unaryIf14__hip_bfloat16EvPKvPT0_lll15HIP_vector_typeIjLj3EElll.uses_vcc, 1
	.set _ZL13convert_unaryIf14__hip_bfloat16EvPKvPT0_lll15HIP_vector_typeIjLj3EElll.uses_flat_scratch, 0
	.set _ZL13convert_unaryIf14__hip_bfloat16EvPKvPT0_lll15HIP_vector_typeIjLj3EElll.has_dyn_sized_stack, 0
	.set _ZL13convert_unaryIf14__hip_bfloat16EvPKvPT0_lll15HIP_vector_typeIjLj3EElll.has_recursion, 0
	.set _ZL13convert_unaryIf14__hip_bfloat16EvPKvPT0_lll15HIP_vector_typeIjLj3EElll.has_indirect_call, 0
	.section	.AMDGPU.csdata,"",@progbits
; Kernel info:
; codeLenInByte = 632
; TotalNumSgprs: 43
; NumVgprs: 9
; ScratchSize: 0
; MemoryBound: 0
; FloatMode: 240
; IeeeMode: 1
; LDSByteSize: 0 bytes/workgroup (compile time only)
; SGPRBlocks: 0
; VGPRBlocks: 1
; NumSGPRsForWavesPerEU: 43
; NumVGPRsForWavesPerEU: 9
; Occupancy: 16
; WaveLimiterHint : 0
; COMPUTE_PGM_RSRC2:SCRATCH_EN: 0
; COMPUTE_PGM_RSRC2:USER_SGPR: 6
; COMPUTE_PGM_RSRC2:TRAP_HANDLER: 0
; COMPUTE_PGM_RSRC2:TGID_X_EN: 1
; COMPUTE_PGM_RSRC2:TGID_Y_EN: 1
; COMPUTE_PGM_RSRC2:TGID_Z_EN: 1
; COMPUTE_PGM_RSRC2:TIDIG_COMP_CNT: 0
	.section	.text._ZL16dequantize_blockILi128ELi1EXadL_ZL15dequantize_q1_0PKvliR15HIP_vector_typeIfLj2EEEE14__hip_bfloat16EvS1_PT2_lllS2_IjLj3EElll,"axG",@progbits,_ZL16dequantize_blockILi128ELi1EXadL_ZL15dequantize_q1_0PKvliR15HIP_vector_typeIfLj2EEEE14__hip_bfloat16EvS1_PT2_lllS2_IjLj3EElll,comdat
	.globl	_ZL16dequantize_blockILi128ELi1EXadL_ZL15dequantize_q1_0PKvliR15HIP_vector_typeIfLj2EEEE14__hip_bfloat16EvS1_PT2_lllS2_IjLj3EElll ; -- Begin function _ZL16dequantize_blockILi128ELi1EXadL_ZL15dequantize_q1_0PKvliR15HIP_vector_typeIfLj2EEEE14__hip_bfloat16EvS1_PT2_lllS2_IjLj3EElll
	.p2align	8
	.type	_ZL16dequantize_blockILi128ELi1EXadL_ZL15dequantize_q1_0PKvliR15HIP_vector_typeIfLj2EEEE14__hip_bfloat16EvS1_PT2_lllS2_IjLj3EElll,@function
_ZL16dequantize_blockILi128ELi1EXadL_ZL15dequantize_q1_0PKvliR15HIP_vector_typeIfLj2EEEE14__hip_bfloat16EvS1_PT2_lllS2_IjLj3EElll: ; @_ZL16dequantize_blockILi128ELi1EXadL_ZL15dequantize_q1_0PKvliR15HIP_vector_typeIfLj2EEEE14__hip_bfloat16EvS1_PT2_lllS2_IjLj3EElll
; %bb.0:
	s_mov_b32 s10, s7
	s_clause 0x1
	s_load_dword s7, s[4:5], 0x5c
	s_load_dwordx4 s[0:3], s[4:5], 0x10
	v_mov_b32_e32 v1, 0
	s_add_u32 s24, s4, 0x50
	s_addc_u32 s25, s5, 0
	s_waitcnt lgkmcnt(0)
	s_and_b32 s9, s7, 0xffff
	v_mad_u64_u32 v[1:2], null, s9, s6, v[0:1]
	s_mov_b32 s9, exec_lo
	v_lshlrev_b64 v[3:4], 1, v[1:2]
	v_cmpx_gt_i64_e64 s[0:1], v[3:4]
	s_cbranch_execz .LBB47_7
; %bb.1:
	s_load_dwordx2 s[26:27], s[4:5], 0x20
	s_mov_b32 s11, 0
	v_cmp_le_i64_e64 s9, s[2:3], s[10:11]
	s_and_b32 vcc_lo, exec_lo, s9
	s_cbranch_vccnz .LBB47_7
; %bb.2:
	s_clause 0x2
	s_load_dwordx4 s[20:23], s[4:5], 0x0
	s_load_dwordx8 s[12:19], s[4:5], 0x28
	s_load_dwordx2 s[4:5], s[4:5], 0x48
	s_mul_i32 s9, s3, s8
	s_waitcnt lgkmcnt(0)
	s_mul_hi_u32 s15, s2, s8
	s_mul_i32 s28, s2, s8
	s_add_i32 s15, s15, s9
	s_add_u32 s28, s28, s10
	s_addc_u32 s9, s15, 0
	v_lshrrev_b64 v[1:2], 6, v[1:2]
	s_mul_i32 s6, s6, s7
	s_mul_i32 s9, s0, s9
	s_mul_hi_u32 s7, s0, s28
	v_add_nc_u16 v0, s6, v0
	s_add_i32 s6, s7, s9
	s_mul_i32 s7, s1, s28
	v_lshlrev_b64 v[4:5], 8, v[1:2]
	s_add_i32 s7, s6, s7
	s_mul_i32 s6, s0, s28
	s_load_dword s28, s[24:25], 0x4
	v_and_b32_e32 v0, 63, v0
	s_lshl_b64 s[6:7], s[6:7], 1
	v_and_b32_e32 v7, 6, v3
	v_add_co_u32 v4, vcc_lo, s6, v4
	v_lshlrev_b32_e32 v6, 2, v0
	v_add_co_ci_u32_e64 v5, null, s7, v5, vcc_lo
	v_bfe_u32 v0, v3, 3, 4
	s_mov_b32 s9, s11
	v_add_co_u32 v4, vcc_lo, v4, v6
	v_add_co_ci_u32_e64 v5, null, 0, v5, vcc_lo
	s_mul_hi_u32 s15, s2, s0
	v_add_co_u32 v3, vcc_lo, s22, v4
	v_add_co_ci_u32_e64 v4, null, s23, v5, vcc_lo
	s_waitcnt lgkmcnt(0)
	s_mul_i32 s6, s1, s28
	s_mul_i32 s1, s2, s1
	v_add_co_u32 v3, vcc_lo, v3, 2
	s_mul_hi_u32 s7, s0, s28
	s_add_i32 s1, s15, s1
	s_mul_i32 s15, s3, s0
	v_cmp_gt_i64_e64 s29, s[26:27], s[8:9]
	v_or_b32_e32 v8, 1, v7
	v_add_co_ci_u32_e64 v4, null, 0, v4, vcc_lo
	s_add_i32 s7, s7, s6
	s_mul_i32 s6, s0, s28
	s_add_i32 s1, s1, s15
	s_mul_i32 s0, s2, s0
	s_lshl_b64 s[6:7], s[6:7], 1
	s_lshl_b64 s[22:23], s[0:1], 1
	s_sub_i32 s30, 0, s14
	s_branch .LBB47_4
.LBB47_3:                               ;   in Loop: Header=BB47_4 Depth=1
	s_add_u32 s10, s10, s28
	s_addc_u32 s11, s11, 0
	v_add_co_u32 v3, vcc_lo, v3, s6
	v_cmp_ge_i64_e64 s0, s[10:11], s[2:3]
	v_add_co_ci_u32_e64 v4, null, s7, v4, vcc_lo
	s_and_b32 vcc_lo, exec_lo, s0
	s_cbranch_vccnz .LBB47_7
.LBB47_4:                               ; =>This Loop Header: Depth=1
                                        ;     Child Loop BB47_6 Depth 2
	s_andn2_b32 vcc_lo, exec_lo, s29
	s_cbranch_vccnz .LBB47_3
; %bb.5:                                ;   in Loop: Header=BB47_4 Depth=1
	s_load_dword s31, s[24:25], 0x8
	s_mul_i32 s0, s10, s17
	s_mul_hi_u32 s1, s10, s16
	s_mul_i32 s14, s11, s16
	s_add_i32 s0, s1, s0
	s_mul_i32 s15, s10, s16
	s_add_i32 s0, s0, s14
	v_mov_b32_e32 v6, v4
	s_mul_hi_u32 s34, s15, 18
	s_mul_i32 s0, s0, 18
	v_mov_b32_e32 v5, v3
	s_add_i32 s34, s34, s0
	s_mul_i32 s33, s15, 18
	s_mov_b64 s[14:15], s[8:9]
	s_waitcnt lgkmcnt(0)
	s_mul_i32 s0, s23, s31
	s_mul_hi_u32 s1, s22, s31
	s_mul_i32 s35, s22, s31
	s_add_i32 s36, s1, s0
.LBB47_6:                               ;   Parent Loop BB47_4 Depth=1
                                        ; =>  This Inner Loop Header: Depth=2
	s_mul_hi_u32 s0, s12, s14
	s_add_i32 s0, s14, s0
	s_lshr_b32 s0, s0, s13
	s_mul_i32 s1, s30, s0
	s_mul_i32 s37, s5, s0
	s_mul_hi_u32 s38, s4, s0
	s_add_i32 s1, s14, s1
	s_mul_i32 s0, s4, s0
	s_add_i32 s37, s38, s37
	s_mul_i32 s39, s19, s1
	s_mul_hi_u32 s40, s18, s1
	s_mul_hi_u32 s38, s0, 18
	s_mul_i32 s1, s18, s1
	s_mul_i32 s37, s37, 18
	s_add_i32 s39, s40, s39
	s_mul_i32 s0, s0, 18
	s_add_i32 s38, s38, s37
	s_mul_hi_u32 s37, s1, 18
	s_mul_i32 s39, s39, 18
	s_mul_i32 s1, s1, 18
	s_add_u32 s0, s20, s0
	s_addc_u32 s38, s21, s38
	s_add_i32 s37, s37, s39
	s_add_u32 s0, s0, s1
	s_addc_u32 s1, s38, s37
	s_add_u32 s0, s0, s33
	s_addc_u32 s1, s1, s34
	s_add_u32 s14, s14, s31
	v_mad_u64_u32 v[9:10], null, v1, 18, s[0:1]
	s_addc_u32 s15, s15, 0
	v_cmp_ge_i64_e64 s0, s[14:15], s[26:27]
	v_mad_u64_u32 v[10:11], null, v2, 18, v[10:11]
	v_add_co_u32 v11, vcc_lo, v9, v0
	v_add_co_ci_u32_e64 v12, null, 0, v10, vcc_lo
	s_clause 0x1
	global_load_ubyte v11, v[11:12], off offset:2
	global_load_ushort v9, v[9:10], off
	s_and_b32 vcc_lo, exec_lo, s0
	s_waitcnt vmcnt(1)
	v_lshrrev_b32_e32 v10, v7, v11
	v_lshrrev_b32_e32 v11, v8, v11
	s_waitcnt vmcnt(0)
	v_cvt_f32_f16_e32 v9, v9
	v_lshlrev_b32_e32 v10, 1, v10
	v_lshlrev_b32_e32 v11, 1, v11
	v_and_b32_e32 v10, 2, v10
	v_and_b32_e32 v11, 2, v11
	v_add_nc_u32_e32 v10, -1, v10
	v_add_nc_u32_e32 v11, -1, v11
	v_cvt_f32_i32_e32 v10, v10
	v_cvt_f32_i32_e32 v11, v11
	v_mul_f32_e32 v10, v9, v10
	v_mul_f32_e32 v9, v9, v11
	v_bfe_u32 v11, v10, 16, 1
	v_bfe_u32 v12, v9, 16, 1
	v_or_b32_e32 v13, 0x400000, v10
	v_or_b32_e32 v14, 0x400000, v9
	v_cmp_u_f32_e64 s0, v9, v9
	v_add3_u32 v11, v11, v10, 0x7fff
	v_add3_u32 v12, v12, v9, 0x7fff
	v_cmp_u_f32_e64 s1, v10, v10
	v_cndmask_b32_e64 v10, v12, v14, s0
	v_cndmask_b32_e64 v9, v11, v13, s1
	v_perm_b32 v9, v10, v9, 0x7060302
	global_store_dword v[5:6], v9, off offset:-2
	v_add_co_u32 v5, s0, v5, s35
	v_add_co_ci_u32_e64 v6, null, s36, v6, s0
	s_cbranch_vccz .LBB47_6
	s_branch .LBB47_3
.LBB47_7:
	s_endpgm
	.section	.rodata,"a",@progbits
	.p2align	6, 0x0
	.amdhsa_kernel _ZL16dequantize_blockILi128ELi1EXadL_ZL15dequantize_q1_0PKvliR15HIP_vector_typeIfLj2EEEE14__hip_bfloat16EvS1_PT2_lllS2_IjLj3EElll
		.amdhsa_group_segment_fixed_size 0
		.amdhsa_private_segment_fixed_size 0
		.amdhsa_kernarg_size 336
		.amdhsa_user_sgpr_count 6
		.amdhsa_user_sgpr_private_segment_buffer 1
		.amdhsa_user_sgpr_dispatch_ptr 0
		.amdhsa_user_sgpr_queue_ptr 0
		.amdhsa_user_sgpr_kernarg_segment_ptr 1
		.amdhsa_user_sgpr_dispatch_id 0
		.amdhsa_user_sgpr_flat_scratch_init 0
		.amdhsa_user_sgpr_private_segment_size 0
		.amdhsa_wavefront_size32 1
		.amdhsa_uses_dynamic_stack 0
		.amdhsa_system_sgpr_private_segment_wavefront_offset 0
		.amdhsa_system_sgpr_workgroup_id_x 1
		.amdhsa_system_sgpr_workgroup_id_y 1
		.amdhsa_system_sgpr_workgroup_id_z 1
		.amdhsa_system_sgpr_workgroup_info 0
		.amdhsa_system_vgpr_workitem_id 0
		.amdhsa_next_free_vgpr 15
		.amdhsa_next_free_sgpr 41
		.amdhsa_reserve_vcc 1
		.amdhsa_reserve_flat_scratch 0
		.amdhsa_float_round_mode_32 0
		.amdhsa_float_round_mode_16_64 0
		.amdhsa_float_denorm_mode_32 3
		.amdhsa_float_denorm_mode_16_64 3
		.amdhsa_dx10_clamp 1
		.amdhsa_ieee_mode 1
		.amdhsa_fp16_overflow 0
		.amdhsa_workgroup_processor_mode 1
		.amdhsa_memory_ordered 1
		.amdhsa_forward_progress 1
		.amdhsa_shared_vgpr_count 0
		.amdhsa_exception_fp_ieee_invalid_op 0
		.amdhsa_exception_fp_denorm_src 0
		.amdhsa_exception_fp_ieee_div_zero 0
		.amdhsa_exception_fp_ieee_overflow 0
		.amdhsa_exception_fp_ieee_underflow 0
		.amdhsa_exception_fp_ieee_inexact 0
		.amdhsa_exception_int_div_zero 0
	.end_amdhsa_kernel
	.section	.text._ZL16dequantize_blockILi128ELi1EXadL_ZL15dequantize_q1_0PKvliR15HIP_vector_typeIfLj2EEEE14__hip_bfloat16EvS1_PT2_lllS2_IjLj3EElll,"axG",@progbits,_ZL16dequantize_blockILi128ELi1EXadL_ZL15dequantize_q1_0PKvliR15HIP_vector_typeIfLj2EEEE14__hip_bfloat16EvS1_PT2_lllS2_IjLj3EElll,comdat
.Lfunc_end47:
	.size	_ZL16dequantize_blockILi128ELi1EXadL_ZL15dequantize_q1_0PKvliR15HIP_vector_typeIfLj2EEEE14__hip_bfloat16EvS1_PT2_lllS2_IjLj3EElll, .Lfunc_end47-_ZL16dequantize_blockILi128ELi1EXadL_ZL15dequantize_q1_0PKvliR15HIP_vector_typeIfLj2EEEE14__hip_bfloat16EvS1_PT2_lllS2_IjLj3EElll
                                        ; -- End function
	.set _ZL16dequantize_blockILi128ELi1EXadL_ZL15dequantize_q1_0PKvliR15HIP_vector_typeIfLj2EEEE14__hip_bfloat16EvS1_PT2_lllS2_IjLj3EElll.num_vgpr, 15
	.set _ZL16dequantize_blockILi128ELi1EXadL_ZL15dequantize_q1_0PKvliR15HIP_vector_typeIfLj2EEEE14__hip_bfloat16EvS1_PT2_lllS2_IjLj3EElll.num_agpr, 0
	.set _ZL16dequantize_blockILi128ELi1EXadL_ZL15dequantize_q1_0PKvliR15HIP_vector_typeIfLj2EEEE14__hip_bfloat16EvS1_PT2_lllS2_IjLj3EElll.numbered_sgpr, 41
	.set _ZL16dequantize_blockILi128ELi1EXadL_ZL15dequantize_q1_0PKvliR15HIP_vector_typeIfLj2EEEE14__hip_bfloat16EvS1_PT2_lllS2_IjLj3EElll.num_named_barrier, 0
	.set _ZL16dequantize_blockILi128ELi1EXadL_ZL15dequantize_q1_0PKvliR15HIP_vector_typeIfLj2EEEE14__hip_bfloat16EvS1_PT2_lllS2_IjLj3EElll.private_seg_size, 0
	.set _ZL16dequantize_blockILi128ELi1EXadL_ZL15dequantize_q1_0PKvliR15HIP_vector_typeIfLj2EEEE14__hip_bfloat16EvS1_PT2_lllS2_IjLj3EElll.uses_vcc, 1
	.set _ZL16dequantize_blockILi128ELi1EXadL_ZL15dequantize_q1_0PKvliR15HIP_vector_typeIfLj2EEEE14__hip_bfloat16EvS1_PT2_lllS2_IjLj3EElll.uses_flat_scratch, 0
	.set _ZL16dequantize_blockILi128ELi1EXadL_ZL15dequantize_q1_0PKvliR15HIP_vector_typeIfLj2EEEE14__hip_bfloat16EvS1_PT2_lllS2_IjLj3EElll.has_dyn_sized_stack, 0
	.set _ZL16dequantize_blockILi128ELi1EXadL_ZL15dequantize_q1_0PKvliR15HIP_vector_typeIfLj2EEEE14__hip_bfloat16EvS1_PT2_lllS2_IjLj3EElll.has_recursion, 0
	.set _ZL16dequantize_blockILi128ELi1EXadL_ZL15dequantize_q1_0PKvliR15HIP_vector_typeIfLj2EEEE14__hip_bfloat16EvS1_PT2_lllS2_IjLj3EElll.has_indirect_call, 0
	.section	.AMDGPU.csdata,"",@progbits
; Kernel info:
; codeLenInByte = 896
; TotalNumSgprs: 43
; NumVgprs: 15
; ScratchSize: 0
; MemoryBound: 0
; FloatMode: 240
; IeeeMode: 1
; LDSByteSize: 0 bytes/workgroup (compile time only)
; SGPRBlocks: 0
; VGPRBlocks: 1
; NumSGPRsForWavesPerEU: 43
; NumVGPRsForWavesPerEU: 15
; Occupancy: 16
; WaveLimiterHint : 0
; COMPUTE_PGM_RSRC2:SCRATCH_EN: 0
; COMPUTE_PGM_RSRC2:USER_SGPR: 6
; COMPUTE_PGM_RSRC2:TRAP_HANDLER: 0
; COMPUTE_PGM_RSRC2:TGID_X_EN: 1
; COMPUTE_PGM_RSRC2:TGID_Y_EN: 1
; COMPUTE_PGM_RSRC2:TGID_Z_EN: 1
; COMPUTE_PGM_RSRC2:TIDIG_COMP_CNT: 0
	.section	.text._ZL16dequantize_blockILi32ELi2EXadL_ZL15dequantize_q4_0PKvliR15HIP_vector_typeIfLj2EEEE14__hip_bfloat16EvS1_PT2_lllS2_IjLj3EElll,"axG",@progbits,_ZL16dequantize_blockILi32ELi2EXadL_ZL15dequantize_q4_0PKvliR15HIP_vector_typeIfLj2EEEE14__hip_bfloat16EvS1_PT2_lllS2_IjLj3EElll,comdat
	.globl	_ZL16dequantize_blockILi32ELi2EXadL_ZL15dequantize_q4_0PKvliR15HIP_vector_typeIfLj2EEEE14__hip_bfloat16EvS1_PT2_lllS2_IjLj3EElll ; -- Begin function _ZL16dequantize_blockILi32ELi2EXadL_ZL15dequantize_q4_0PKvliR15HIP_vector_typeIfLj2EEEE14__hip_bfloat16EvS1_PT2_lllS2_IjLj3EElll
	.p2align	8
	.type	_ZL16dequantize_blockILi32ELi2EXadL_ZL15dequantize_q4_0PKvliR15HIP_vector_typeIfLj2EEEE14__hip_bfloat16EvS1_PT2_lllS2_IjLj3EElll,@function
_ZL16dequantize_blockILi32ELi2EXadL_ZL15dequantize_q4_0PKvliR15HIP_vector_typeIfLj2EEEE14__hip_bfloat16EvS1_PT2_lllS2_IjLj3EElll: ; @_ZL16dequantize_blockILi32ELi2EXadL_ZL15dequantize_q4_0PKvliR15HIP_vector_typeIfLj2EEEE14__hip_bfloat16EvS1_PT2_lllS2_IjLj3EElll
; %bb.0:
	s_mov_b32 s10, s7
	s_clause 0x1
	s_load_dword s7, s[4:5], 0x5c
	s_load_dwordx4 s[0:3], s[4:5], 0x10
	v_mov_b32_e32 v1, 0
	s_add_u32 s24, s4, 0x50
	s_addc_u32 s25, s5, 0
	s_waitcnt lgkmcnt(0)
	s_and_b32 s7, s7, 0xffff
	v_mad_u64_u32 v[2:3], null, s7, s6, v[0:1]
	s_mov_b32 s6, exec_lo
	v_lshlrev_b64 v[0:1], 1, v[2:3]
	v_cmpx_gt_i64_e64 s[0:1], v[0:1]
	s_cbranch_execz .LBB48_7
; %bb.1:
	s_load_dwordx2 s[6:7], s[4:5], 0x20
	s_mov_b32 s11, 0
	v_cmp_le_i64_e64 s9, s[2:3], s[10:11]
	s_and_b32 vcc_lo, exec_lo, s9
	s_cbranch_vccnz .LBB48_7
; %bb.2:
	s_mul_i32 s9, s3, s8
	s_mul_hi_u32 s12, s2, s8
	s_mul_i32 s13, s2, s8
	s_add_i32 s12, s12, s9
	v_lshrrev_b64 v[0:1], 4, v[2:3]
	s_add_u32 s9, s13, s10
	s_addc_u32 s12, s12, 0
	s_mul_hi_u32 s13, s0, s9
	s_mul_i32 s12, s0, s12
	s_load_dwordx4 s[20:23], s[4:5], 0x0
	s_add_i32 s12, s13, s12
	s_mul_i32 s13, s1, s9
	v_and_b32_e32 v6, 15, v2
	v_lshlrev_b64 v[2:3], 6, v[0:1]
	s_add_i32 s13, s12, s13
	s_mul_i32 s12, s0, s9
	s_load_dword s28, s[24:25], 0x4
	s_lshl_b64 s[12:13], s[12:13], 1
	v_lshlrev_b32_e32 v4, 1, v6
	v_add_co_u32 v2, vcc_lo, s12, v2
	v_add_co_ci_u32_e64 v3, null, s13, v3, vcc_lo
	s_clause 0x1
	s_load_dwordx8 s[12:19], s[4:5], 0x28
	s_load_dwordx2 s[4:5], s[4:5], 0x48
	v_add_co_u32 v2, vcc_lo, v2, v4
	v_add_co_ci_u32_e64 v3, null, 0, v3, vcc_lo
	s_mov_b32 s9, s11
	s_waitcnt lgkmcnt(0)
	v_add_co_u32 v2, vcc_lo, s22, v2
	v_add_co_ci_u32_e64 v3, null, s23, v3, vcc_lo
	s_mul_hi_u32 s26, s2, s0
	v_add_co_u32 v2, vcc_lo, v2, 32
	s_mul_i32 s15, s1, s28
	s_mul_hi_u32 s22, s0, s28
	s_mul_i32 s1, s2, s1
	s_add_i32 s23, s22, s15
	s_add_i32 s1, s26, s1
	s_mul_i32 s15, s3, s0
	v_cmp_gt_i64_e64 s29, s[6:7], s[8:9]
	v_add_co_ci_u32_e64 v3, null, 0, v3, vcc_lo
	s_mul_i32 s22, s0, s28
	s_add_i32 s1, s1, s15
	s_mul_i32 s0, s2, s0
	s_lshl_b64 s[22:23], s[22:23], 1
	s_lshl_b64 s[26:27], s[0:1], 1
	s_sub_i32 s30, 0, s14
	s_branch .LBB48_4
.LBB48_3:                               ;   in Loop: Header=BB48_4 Depth=1
	s_add_u32 s10, s10, s28
	s_addc_u32 s11, s11, 0
	v_add_co_u32 v2, vcc_lo, v2, s22
	v_cmp_ge_i64_e64 s0, s[10:11], s[2:3]
	v_add_co_ci_u32_e64 v3, null, s23, v3, vcc_lo
	s_and_b32 vcc_lo, exec_lo, s0
	s_cbranch_vccnz .LBB48_7
.LBB48_4:                               ; =>This Loop Header: Depth=1
                                        ;     Child Loop BB48_6 Depth 2
	s_andn2_b32 vcc_lo, exec_lo, s29
	s_cbranch_vccnz .LBB48_3
; %bb.5:                                ;   in Loop: Header=BB48_4 Depth=1
	s_load_dword s31, s[24:25], 0x8
	s_mul_i32 s0, s10, s17
	s_mul_hi_u32 s1, s10, s16
	s_mul_i32 s14, s11, s16
	s_add_i32 s0, s1, s0
	s_mul_i32 s15, s10, s16
	s_add_i32 s0, s0, s14
	v_mov_b32_e32 v5, v3
	s_mul_hi_u32 s34, s15, 18
	s_mul_i32 s0, s0, 18
	v_mov_b32_e32 v4, v2
	s_add_i32 s34, s34, s0
	s_mul_i32 s33, s15, 18
	s_mov_b64 s[14:15], s[8:9]
	s_waitcnt lgkmcnt(0)
	s_mul_i32 s0, s27, s31
	s_mul_hi_u32 s1, s26, s31
	s_mul_i32 s35, s26, s31
	s_add_i32 s36, s1, s0
.LBB48_6:                               ;   Parent Loop BB48_4 Depth=1
                                        ; =>  This Inner Loop Header: Depth=2
	s_mul_hi_u32 s0, s12, s14
	s_add_i32 s0, s14, s0
	s_lshr_b32 s0, s0, s13
	s_mul_i32 s1, s30, s0
	s_mul_i32 s37, s5, s0
	s_mul_hi_u32 s38, s4, s0
	s_add_i32 s1, s14, s1
	s_mul_i32 s0, s4, s0
	s_add_i32 s37, s38, s37
	s_mul_i32 s39, s19, s1
	s_mul_hi_u32 s40, s18, s1
	s_mul_hi_u32 s38, s0, 18
	s_mul_i32 s1, s18, s1
	s_mul_i32 s37, s37, 18
	s_add_i32 s39, s40, s39
	s_mul_i32 s0, s0, 18
	s_add_i32 s38, s38, s37
	s_mul_hi_u32 s37, s1, 18
	s_mul_i32 s39, s39, 18
	s_mul_i32 s1, s1, 18
	s_add_u32 s0, s20, s0
	s_addc_u32 s38, s21, s38
	s_add_i32 s37, s37, s39
	s_add_u32 s0, s0, s1
	s_addc_u32 s1, s38, s37
	s_add_u32 s0, s0, s33
	s_addc_u32 s1, s1, s34
	s_add_u32 s14, s14, s31
	v_mad_u64_u32 v[7:8], null, v0, 18, s[0:1]
	s_addc_u32 s15, s15, 0
	v_cmp_ge_i64_e64 s0, s[14:15], s[6:7]
	v_mad_u64_u32 v[8:9], null, v1, 18, v[8:9]
	v_add_co_u32 v9, vcc_lo, v7, v6
	v_add_co_ci_u32_e64 v10, null, 0, v8, vcc_lo
	s_clause 0x1
	global_load_ubyte v9, v[9:10], off offset:2
	global_load_ushort v7, v[7:8], off
	s_and_b32 vcc_lo, exec_lo, s0
	s_waitcnt vmcnt(1)
	v_and_b32_e32 v8, 15, v9
	v_lshrrev_b32_e32 v9, 4, v9
	s_waitcnt vmcnt(0)
	v_cvt_f32_f16_e32 v7, v7
	v_add_nc_u32_e32 v8, -8, v8
	v_add_nc_u32_e32 v9, -8, v9
	v_cvt_f32_i32_e32 v8, v8
	v_cvt_f32_i32_e32 v9, v9
	v_mul_f32_e32 v8, v7, v8
	v_mul_f32_e32 v7, v7, v9
	v_bfe_u32 v9, v8, 16, 1
	v_bfe_u32 v10, v7, 16, 1
	v_or_b32_e32 v11, 0x400000, v8
	v_cmp_u_f32_e64 s1, v8, v8
	v_or_b32_e32 v12, 0x400000, v7
	v_add3_u32 v9, v9, v8, 0x7fff
	v_add3_u32 v10, v10, v7, 0x7fff
	v_cmp_u_f32_e64 s0, v7, v7
	v_cndmask_b32_e64 v7, v9, v11, s1
	v_cndmask_b32_e64 v8, v10, v12, s0
	global_store_short_d16_hi v[4:5], v7, off offset:-32
	global_store_short_d16_hi v[4:5], v8, off
	v_add_co_u32 v4, s0, v4, s35
	v_add_co_ci_u32_e64 v5, null, s36, v5, s0
	s_cbranch_vccz .LBB48_6
	s_branch .LBB48_3
.LBB48_7:
	s_endpgm
	.section	.rodata,"a",@progbits
	.p2align	6, 0x0
	.amdhsa_kernel _ZL16dequantize_blockILi32ELi2EXadL_ZL15dequantize_q4_0PKvliR15HIP_vector_typeIfLj2EEEE14__hip_bfloat16EvS1_PT2_lllS2_IjLj3EElll
		.amdhsa_group_segment_fixed_size 0
		.amdhsa_private_segment_fixed_size 0
		.amdhsa_kernarg_size 336
		.amdhsa_user_sgpr_count 6
		.amdhsa_user_sgpr_private_segment_buffer 1
		.amdhsa_user_sgpr_dispatch_ptr 0
		.amdhsa_user_sgpr_queue_ptr 0
		.amdhsa_user_sgpr_kernarg_segment_ptr 1
		.amdhsa_user_sgpr_dispatch_id 0
		.amdhsa_user_sgpr_flat_scratch_init 0
		.amdhsa_user_sgpr_private_segment_size 0
		.amdhsa_wavefront_size32 1
		.amdhsa_uses_dynamic_stack 0
		.amdhsa_system_sgpr_private_segment_wavefront_offset 0
		.amdhsa_system_sgpr_workgroup_id_x 1
		.amdhsa_system_sgpr_workgroup_id_y 1
		.amdhsa_system_sgpr_workgroup_id_z 1
		.amdhsa_system_sgpr_workgroup_info 0
		.amdhsa_system_vgpr_workitem_id 0
		.amdhsa_next_free_vgpr 13
		.amdhsa_next_free_sgpr 41
		.amdhsa_reserve_vcc 1
		.amdhsa_reserve_flat_scratch 0
		.amdhsa_float_round_mode_32 0
		.amdhsa_float_round_mode_16_64 0
		.amdhsa_float_denorm_mode_32 3
		.amdhsa_float_denorm_mode_16_64 3
		.amdhsa_dx10_clamp 1
		.amdhsa_ieee_mode 1
		.amdhsa_fp16_overflow 0
		.amdhsa_workgroup_processor_mode 1
		.amdhsa_memory_ordered 1
		.amdhsa_forward_progress 1
		.amdhsa_shared_vgpr_count 0
		.amdhsa_exception_fp_ieee_invalid_op 0
		.amdhsa_exception_fp_denorm_src 0
		.amdhsa_exception_fp_ieee_div_zero 0
		.amdhsa_exception_fp_ieee_overflow 0
		.amdhsa_exception_fp_ieee_underflow 0
		.amdhsa_exception_fp_ieee_inexact 0
		.amdhsa_exception_int_div_zero 0
	.end_amdhsa_kernel
	.section	.text._ZL16dequantize_blockILi32ELi2EXadL_ZL15dequantize_q4_0PKvliR15HIP_vector_typeIfLj2EEEE14__hip_bfloat16EvS1_PT2_lllS2_IjLj3EElll,"axG",@progbits,_ZL16dequantize_blockILi32ELi2EXadL_ZL15dequantize_q4_0PKvliR15HIP_vector_typeIfLj2EEEE14__hip_bfloat16EvS1_PT2_lllS2_IjLj3EElll,comdat
.Lfunc_end48:
	.size	_ZL16dequantize_blockILi32ELi2EXadL_ZL15dequantize_q4_0PKvliR15HIP_vector_typeIfLj2EEEE14__hip_bfloat16EvS1_PT2_lllS2_IjLj3EElll, .Lfunc_end48-_ZL16dequantize_blockILi32ELi2EXadL_ZL15dequantize_q4_0PKvliR15HIP_vector_typeIfLj2EEEE14__hip_bfloat16EvS1_PT2_lllS2_IjLj3EElll
                                        ; -- End function
	.set _ZL16dequantize_blockILi32ELi2EXadL_ZL15dequantize_q4_0PKvliR15HIP_vector_typeIfLj2EEEE14__hip_bfloat16EvS1_PT2_lllS2_IjLj3EElll.num_vgpr, 13
	.set _ZL16dequantize_blockILi32ELi2EXadL_ZL15dequantize_q4_0PKvliR15HIP_vector_typeIfLj2EEEE14__hip_bfloat16EvS1_PT2_lllS2_IjLj3EElll.num_agpr, 0
	.set _ZL16dequantize_blockILi32ELi2EXadL_ZL15dequantize_q4_0PKvliR15HIP_vector_typeIfLj2EEEE14__hip_bfloat16EvS1_PT2_lllS2_IjLj3EElll.numbered_sgpr, 41
	.set _ZL16dequantize_blockILi32ELi2EXadL_ZL15dequantize_q4_0PKvliR15HIP_vector_typeIfLj2EEEE14__hip_bfloat16EvS1_PT2_lllS2_IjLj3EElll.num_named_barrier, 0
	.set _ZL16dequantize_blockILi32ELi2EXadL_ZL15dequantize_q4_0PKvliR15HIP_vector_typeIfLj2EEEE14__hip_bfloat16EvS1_PT2_lllS2_IjLj3EElll.private_seg_size, 0
	.set _ZL16dequantize_blockILi32ELi2EXadL_ZL15dequantize_q4_0PKvliR15HIP_vector_typeIfLj2EEEE14__hip_bfloat16EvS1_PT2_lllS2_IjLj3EElll.uses_vcc, 1
	.set _ZL16dequantize_blockILi32ELi2EXadL_ZL15dequantize_q4_0PKvliR15HIP_vector_typeIfLj2EEEE14__hip_bfloat16EvS1_PT2_lllS2_IjLj3EElll.uses_flat_scratch, 0
	.set _ZL16dequantize_blockILi32ELi2EXadL_ZL15dequantize_q4_0PKvliR15HIP_vector_typeIfLj2EEEE14__hip_bfloat16EvS1_PT2_lllS2_IjLj3EElll.has_dyn_sized_stack, 0
	.set _ZL16dequantize_blockILi32ELi2EXadL_ZL15dequantize_q4_0PKvliR15HIP_vector_typeIfLj2EEEE14__hip_bfloat16EvS1_PT2_lllS2_IjLj3EElll.has_recursion, 0
	.set _ZL16dequantize_blockILi32ELi2EXadL_ZL15dequantize_q4_0PKvliR15HIP_vector_typeIfLj2EEEE14__hip_bfloat16EvS1_PT2_lllS2_IjLj3EElll.has_indirect_call, 0
	.section	.AMDGPU.csdata,"",@progbits
; Kernel info:
; codeLenInByte = 844
; TotalNumSgprs: 43
; NumVgprs: 13
; ScratchSize: 0
; MemoryBound: 0
; FloatMode: 240
; IeeeMode: 1
; LDSByteSize: 0 bytes/workgroup (compile time only)
; SGPRBlocks: 0
; VGPRBlocks: 1
; NumSGPRsForWavesPerEU: 43
; NumVGPRsForWavesPerEU: 13
; Occupancy: 16
; WaveLimiterHint : 0
; COMPUTE_PGM_RSRC2:SCRATCH_EN: 0
; COMPUTE_PGM_RSRC2:USER_SGPR: 6
; COMPUTE_PGM_RSRC2:TRAP_HANDLER: 0
; COMPUTE_PGM_RSRC2:TGID_X_EN: 1
; COMPUTE_PGM_RSRC2:TGID_Y_EN: 1
; COMPUTE_PGM_RSRC2:TGID_Z_EN: 1
; COMPUTE_PGM_RSRC2:TIDIG_COMP_CNT: 0
	.section	.text._ZL16dequantize_blockILi32ELi2EXadL_ZL15dequantize_q4_1PKvliR15HIP_vector_typeIfLj2EEEE14__hip_bfloat16EvS1_PT2_lllS2_IjLj3EElll,"axG",@progbits,_ZL16dequantize_blockILi32ELi2EXadL_ZL15dequantize_q4_1PKvliR15HIP_vector_typeIfLj2EEEE14__hip_bfloat16EvS1_PT2_lllS2_IjLj3EElll,comdat
	.globl	_ZL16dequantize_blockILi32ELi2EXadL_ZL15dequantize_q4_1PKvliR15HIP_vector_typeIfLj2EEEE14__hip_bfloat16EvS1_PT2_lllS2_IjLj3EElll ; -- Begin function _ZL16dequantize_blockILi32ELi2EXadL_ZL15dequantize_q4_1PKvliR15HIP_vector_typeIfLj2EEEE14__hip_bfloat16EvS1_PT2_lllS2_IjLj3EElll
	.p2align	8
	.type	_ZL16dequantize_blockILi32ELi2EXadL_ZL15dequantize_q4_1PKvliR15HIP_vector_typeIfLj2EEEE14__hip_bfloat16EvS1_PT2_lllS2_IjLj3EElll,@function
_ZL16dequantize_blockILi32ELi2EXadL_ZL15dequantize_q4_1PKvliR15HIP_vector_typeIfLj2EEEE14__hip_bfloat16EvS1_PT2_lllS2_IjLj3EElll: ; @_ZL16dequantize_blockILi32ELi2EXadL_ZL15dequantize_q4_1PKvliR15HIP_vector_typeIfLj2EEEE14__hip_bfloat16EvS1_PT2_lllS2_IjLj3EElll
; %bb.0:
	s_mov_b32 s10, s7
	s_clause 0x1
	s_load_dword s7, s[4:5], 0x5c
	s_load_dwordx4 s[0:3], s[4:5], 0x10
	v_mov_b32_e32 v1, 0
	s_add_u32 s24, s4, 0x50
	s_addc_u32 s25, s5, 0
	s_waitcnt lgkmcnt(0)
	s_and_b32 s7, s7, 0xffff
	v_mad_u64_u32 v[2:3], null, s7, s6, v[0:1]
	s_mov_b32 s6, exec_lo
	v_lshlrev_b64 v[0:1], 1, v[2:3]
	v_cmpx_gt_i64_e64 s[0:1], v[0:1]
	s_cbranch_execz .LBB49_7
; %bb.1:
	s_load_dwordx2 s[6:7], s[4:5], 0x20
	s_mov_b32 s11, 0
	v_cmp_le_i64_e64 s9, s[2:3], s[10:11]
	s_and_b32 vcc_lo, exec_lo, s9
	s_cbranch_vccnz .LBB49_7
; %bb.2:
	s_mul_i32 s9, s3, s8
	s_mul_hi_u32 s12, s2, s8
	s_mul_i32 s13, s2, s8
	s_add_i32 s12, s12, s9
	v_lshrrev_b64 v[0:1], 4, v[2:3]
	s_add_u32 s9, s13, s10
	s_addc_u32 s12, s12, 0
	s_mul_hi_u32 s13, s0, s9
	s_mul_i32 s12, s0, s12
	s_load_dwordx4 s[20:23], s[4:5], 0x0
	s_add_i32 s12, s13, s12
	s_mul_i32 s13, s1, s9
	v_and_b32_e32 v6, 15, v2
	v_lshlrev_b64 v[2:3], 6, v[0:1]
	s_add_i32 s13, s12, s13
	s_mul_i32 s12, s0, s9
	s_load_dword s28, s[24:25], 0x4
	s_lshl_b64 s[12:13], s[12:13], 1
	v_lshlrev_b32_e32 v4, 1, v6
	v_add_co_u32 v2, vcc_lo, s12, v2
	v_add_co_ci_u32_e64 v3, null, s13, v3, vcc_lo
	s_clause 0x1
	s_load_dwordx8 s[12:19], s[4:5], 0x28
	s_load_dwordx2 s[4:5], s[4:5], 0x48
	v_add_co_u32 v2, vcc_lo, v2, v4
	v_add_co_ci_u32_e64 v3, null, 0, v3, vcc_lo
	s_mov_b32 s9, s11
	s_waitcnt lgkmcnt(0)
	v_add_co_u32 v2, vcc_lo, s22, v2
	v_add_co_ci_u32_e64 v3, null, s23, v3, vcc_lo
	s_mul_hi_u32 s26, s2, s0
	v_add_co_u32 v2, vcc_lo, v2, 32
	s_mul_i32 s15, s1, s28
	s_mul_hi_u32 s22, s0, s28
	s_mul_i32 s1, s2, s1
	s_add_i32 s23, s22, s15
	s_add_i32 s1, s26, s1
	s_mul_i32 s15, s3, s0
	v_cmp_gt_i64_e64 s29, s[6:7], s[8:9]
	v_add_co_ci_u32_e64 v3, null, 0, v3, vcc_lo
	s_mul_i32 s22, s0, s28
	s_add_i32 s1, s1, s15
	s_mul_i32 s0, s2, s0
	s_lshl_b64 s[22:23], s[22:23], 1
	s_lshl_b64 s[26:27], s[0:1], 1
	s_sub_i32 s30, 0, s14
	s_branch .LBB49_4
.LBB49_3:                               ;   in Loop: Header=BB49_4 Depth=1
	s_add_u32 s10, s10, s28
	s_addc_u32 s11, s11, 0
	v_add_co_u32 v2, vcc_lo, v2, s22
	v_cmp_ge_i64_e64 s0, s[10:11], s[2:3]
	v_add_co_ci_u32_e64 v3, null, s23, v3, vcc_lo
	s_and_b32 vcc_lo, exec_lo, s0
	s_cbranch_vccnz .LBB49_7
.LBB49_4:                               ; =>This Loop Header: Depth=1
                                        ;     Child Loop BB49_6 Depth 2
	s_andn2_b32 vcc_lo, exec_lo, s29
	s_cbranch_vccnz .LBB49_3
; %bb.5:                                ;   in Loop: Header=BB49_4 Depth=1
	s_load_dword s31, s[24:25], 0x8
	s_mul_i32 s0, s10, s17
	s_mul_hi_u32 s1, s10, s16
	s_mul_i32 s14, s11, s16
	s_add_i32 s0, s1, s0
	s_mul_i32 s15, s10, s16
	s_add_i32 s0, s0, s14
	v_mov_b32_e32 v5, v3
	s_mul_hi_u32 s34, s15, 20
	s_mul_i32 s0, s0, 20
	v_mov_b32_e32 v4, v2
	s_add_i32 s34, s34, s0
	s_mul_i32 s33, s15, 20
	s_mov_b64 s[14:15], s[8:9]
	s_waitcnt lgkmcnt(0)
	s_mul_i32 s0, s27, s31
	s_mul_hi_u32 s1, s26, s31
	s_mul_i32 s35, s26, s31
	s_add_i32 s36, s1, s0
.LBB49_6:                               ;   Parent Loop BB49_4 Depth=1
                                        ; =>  This Inner Loop Header: Depth=2
	s_mul_hi_u32 s0, s12, s14
	s_add_i32 s0, s14, s0
	s_lshr_b32 s0, s0, s13
	s_mul_i32 s1, s30, s0
	s_mul_i32 s37, s5, s0
	s_mul_hi_u32 s38, s4, s0
	s_add_i32 s1, s14, s1
	s_mul_i32 s0, s4, s0
	s_add_i32 s37, s38, s37
	s_mul_i32 s39, s19, s1
	s_mul_hi_u32 s40, s18, s1
	s_mul_hi_u32 s38, s0, 20
	s_mul_i32 s1, s18, s1
	s_mul_i32 s37, s37, 20
	s_add_i32 s39, s40, s39
	s_mul_i32 s0, s0, 20
	s_add_i32 s38, s38, s37
	s_mul_hi_u32 s37, s1, 20
	s_mul_i32 s39, s39, 20
	s_mul_i32 s1, s1, 20
	s_add_u32 s0, s20, s0
	s_addc_u32 s38, s21, s38
	s_add_i32 s37, s37, s39
	s_add_u32 s0, s0, s1
	s_addc_u32 s1, s38, s37
	s_add_u32 s0, s0, s33
	s_addc_u32 s1, s1, s34
	s_add_u32 s14, s14, s31
	v_mad_u64_u32 v[7:8], null, v0, 20, s[0:1]
	s_addc_u32 s15, s15, 0
	v_cmp_ge_i64_e64 s0, s[14:15], s[6:7]
	v_mad_u64_u32 v[8:9], null, v1, 20, v[8:9]
	v_add_co_u32 v9, vcc_lo, v7, v6
	v_add_co_ci_u32_e64 v10, null, 0, v8, vcc_lo
	s_clause 0x1
	global_load_ubyte v9, v[9:10], off offset:4
	global_load_dword v7, v[7:8], off
	s_and_b32 vcc_lo, exec_lo, s0
	s_waitcnt vmcnt(1)
	v_and_b32_e32 v8, 15, v9
	v_lshrrev_b32_e32 v9, 4, v9
	v_cvt_f32_ubyte0_e32 v8, v8
	v_cvt_f32_ubyte0_e32 v9, v9
	s_waitcnt vmcnt(0)
	v_fma_mix_f32 v8, v7, v8, v7 op_sel:[0,0,1] op_sel_hi:[1,0,1]
	v_fma_mix_f32 v7, v7, v9, v7 op_sel:[0,0,1] op_sel_hi:[1,0,1]
	v_bfe_u32 v9, v8, 16, 1
	v_bfe_u32 v10, v7, 16, 1
	v_or_b32_e32 v11, 0x400000, v8
	v_cmp_u_f32_e64 s1, v8, v8
	v_or_b32_e32 v12, 0x400000, v7
	v_add3_u32 v9, v9, v8, 0x7fff
	v_add3_u32 v10, v10, v7, 0x7fff
	v_cmp_u_f32_e64 s0, v7, v7
	v_cndmask_b32_e64 v7, v9, v11, s1
	v_cndmask_b32_e64 v8, v10, v12, s0
	global_store_short_d16_hi v[4:5], v7, off offset:-32
	global_store_short_d16_hi v[4:5], v8, off
	v_add_co_u32 v4, s0, v4, s35
	v_add_co_ci_u32_e64 v5, null, s36, v5, s0
	s_cbranch_vccz .LBB49_6
	s_branch .LBB49_3
.LBB49_7:
	s_endpgm
	.section	.rodata,"a",@progbits
	.p2align	6, 0x0
	.amdhsa_kernel _ZL16dequantize_blockILi32ELi2EXadL_ZL15dequantize_q4_1PKvliR15HIP_vector_typeIfLj2EEEE14__hip_bfloat16EvS1_PT2_lllS2_IjLj3EElll
		.amdhsa_group_segment_fixed_size 0
		.amdhsa_private_segment_fixed_size 0
		.amdhsa_kernarg_size 336
		.amdhsa_user_sgpr_count 6
		.amdhsa_user_sgpr_private_segment_buffer 1
		.amdhsa_user_sgpr_dispatch_ptr 0
		.amdhsa_user_sgpr_queue_ptr 0
		.amdhsa_user_sgpr_kernarg_segment_ptr 1
		.amdhsa_user_sgpr_dispatch_id 0
		.amdhsa_user_sgpr_flat_scratch_init 0
		.amdhsa_user_sgpr_private_segment_size 0
		.amdhsa_wavefront_size32 1
		.amdhsa_uses_dynamic_stack 0
		.amdhsa_system_sgpr_private_segment_wavefront_offset 0
		.amdhsa_system_sgpr_workgroup_id_x 1
		.amdhsa_system_sgpr_workgroup_id_y 1
		.amdhsa_system_sgpr_workgroup_id_z 1
		.amdhsa_system_sgpr_workgroup_info 0
		.amdhsa_system_vgpr_workitem_id 0
		.amdhsa_next_free_vgpr 13
		.amdhsa_next_free_sgpr 41
		.amdhsa_reserve_vcc 1
		.amdhsa_reserve_flat_scratch 0
		.amdhsa_float_round_mode_32 0
		.amdhsa_float_round_mode_16_64 0
		.amdhsa_float_denorm_mode_32 3
		.amdhsa_float_denorm_mode_16_64 3
		.amdhsa_dx10_clamp 1
		.amdhsa_ieee_mode 1
		.amdhsa_fp16_overflow 0
		.amdhsa_workgroup_processor_mode 1
		.amdhsa_memory_ordered 1
		.amdhsa_forward_progress 1
		.amdhsa_shared_vgpr_count 0
		.amdhsa_exception_fp_ieee_invalid_op 0
		.amdhsa_exception_fp_denorm_src 0
		.amdhsa_exception_fp_ieee_div_zero 0
		.amdhsa_exception_fp_ieee_overflow 0
		.amdhsa_exception_fp_ieee_underflow 0
		.amdhsa_exception_fp_ieee_inexact 0
		.amdhsa_exception_int_div_zero 0
	.end_amdhsa_kernel
	.section	.text._ZL16dequantize_blockILi32ELi2EXadL_ZL15dequantize_q4_1PKvliR15HIP_vector_typeIfLj2EEEE14__hip_bfloat16EvS1_PT2_lllS2_IjLj3EElll,"axG",@progbits,_ZL16dequantize_blockILi32ELi2EXadL_ZL15dequantize_q4_1PKvliR15HIP_vector_typeIfLj2EEEE14__hip_bfloat16EvS1_PT2_lllS2_IjLj3EElll,comdat
.Lfunc_end49:
	.size	_ZL16dequantize_blockILi32ELi2EXadL_ZL15dequantize_q4_1PKvliR15HIP_vector_typeIfLj2EEEE14__hip_bfloat16EvS1_PT2_lllS2_IjLj3EElll, .Lfunc_end49-_ZL16dequantize_blockILi32ELi2EXadL_ZL15dequantize_q4_1PKvliR15HIP_vector_typeIfLj2EEEE14__hip_bfloat16EvS1_PT2_lllS2_IjLj3EElll
                                        ; -- End function
	.set _ZL16dequantize_blockILi32ELi2EXadL_ZL15dequantize_q4_1PKvliR15HIP_vector_typeIfLj2EEEE14__hip_bfloat16EvS1_PT2_lllS2_IjLj3EElll.num_vgpr, 13
	.set _ZL16dequantize_blockILi32ELi2EXadL_ZL15dequantize_q4_1PKvliR15HIP_vector_typeIfLj2EEEE14__hip_bfloat16EvS1_PT2_lllS2_IjLj3EElll.num_agpr, 0
	.set _ZL16dequantize_blockILi32ELi2EXadL_ZL15dequantize_q4_1PKvliR15HIP_vector_typeIfLj2EEEE14__hip_bfloat16EvS1_PT2_lllS2_IjLj3EElll.numbered_sgpr, 41
	.set _ZL16dequantize_blockILi32ELi2EXadL_ZL15dequantize_q4_1PKvliR15HIP_vector_typeIfLj2EEEE14__hip_bfloat16EvS1_PT2_lllS2_IjLj3EElll.num_named_barrier, 0
	.set _ZL16dequantize_blockILi32ELi2EXadL_ZL15dequantize_q4_1PKvliR15HIP_vector_typeIfLj2EEEE14__hip_bfloat16EvS1_PT2_lllS2_IjLj3EElll.private_seg_size, 0
	.set _ZL16dequantize_blockILi32ELi2EXadL_ZL15dequantize_q4_1PKvliR15HIP_vector_typeIfLj2EEEE14__hip_bfloat16EvS1_PT2_lllS2_IjLj3EElll.uses_vcc, 1
	.set _ZL16dequantize_blockILi32ELi2EXadL_ZL15dequantize_q4_1PKvliR15HIP_vector_typeIfLj2EEEE14__hip_bfloat16EvS1_PT2_lllS2_IjLj3EElll.uses_flat_scratch, 0
	.set _ZL16dequantize_blockILi32ELi2EXadL_ZL15dequantize_q4_1PKvliR15HIP_vector_typeIfLj2EEEE14__hip_bfloat16EvS1_PT2_lllS2_IjLj3EElll.has_dyn_sized_stack, 0
	.set _ZL16dequantize_blockILi32ELi2EXadL_ZL15dequantize_q4_1PKvliR15HIP_vector_typeIfLj2EEEE14__hip_bfloat16EvS1_PT2_lllS2_IjLj3EElll.has_recursion, 0
	.set _ZL16dequantize_blockILi32ELi2EXadL_ZL15dequantize_q4_1PKvliR15HIP_vector_typeIfLj2EEEE14__hip_bfloat16EvS1_PT2_lllS2_IjLj3EElll.has_indirect_call, 0
	.section	.AMDGPU.csdata,"",@progbits
; Kernel info:
; codeLenInByte = 840
; TotalNumSgprs: 43
; NumVgprs: 13
; ScratchSize: 0
; MemoryBound: 0
; FloatMode: 240
; IeeeMode: 1
; LDSByteSize: 0 bytes/workgroup (compile time only)
; SGPRBlocks: 0
; VGPRBlocks: 1
; NumSGPRsForWavesPerEU: 43
; NumVGPRsForWavesPerEU: 13
; Occupancy: 16
; WaveLimiterHint : 0
; COMPUTE_PGM_RSRC2:SCRATCH_EN: 0
; COMPUTE_PGM_RSRC2:USER_SGPR: 6
; COMPUTE_PGM_RSRC2:TRAP_HANDLER: 0
; COMPUTE_PGM_RSRC2:TGID_X_EN: 1
; COMPUTE_PGM_RSRC2:TGID_Y_EN: 1
; COMPUTE_PGM_RSRC2:TGID_Z_EN: 1
; COMPUTE_PGM_RSRC2:TIDIG_COMP_CNT: 0
	.section	.text._ZL16dequantize_blockILi32ELi2EXadL_ZL15dequantize_q5_0PKvliR15HIP_vector_typeIfLj2EEEE14__hip_bfloat16EvS1_PT2_lllS2_IjLj3EElll,"axG",@progbits,_ZL16dequantize_blockILi32ELi2EXadL_ZL15dequantize_q5_0PKvliR15HIP_vector_typeIfLj2EEEE14__hip_bfloat16EvS1_PT2_lllS2_IjLj3EElll,comdat
	.globl	_ZL16dequantize_blockILi32ELi2EXadL_ZL15dequantize_q5_0PKvliR15HIP_vector_typeIfLj2EEEE14__hip_bfloat16EvS1_PT2_lllS2_IjLj3EElll ; -- Begin function _ZL16dequantize_blockILi32ELi2EXadL_ZL15dequantize_q5_0PKvliR15HIP_vector_typeIfLj2EEEE14__hip_bfloat16EvS1_PT2_lllS2_IjLj3EElll
	.p2align	8
	.type	_ZL16dequantize_blockILi32ELi2EXadL_ZL15dequantize_q5_0PKvliR15HIP_vector_typeIfLj2EEEE14__hip_bfloat16EvS1_PT2_lllS2_IjLj3EElll,@function
_ZL16dequantize_blockILi32ELi2EXadL_ZL15dequantize_q5_0PKvliR15HIP_vector_typeIfLj2EEEE14__hip_bfloat16EvS1_PT2_lllS2_IjLj3EElll: ; @_ZL16dequantize_blockILi32ELi2EXadL_ZL15dequantize_q5_0PKvliR15HIP_vector_typeIfLj2EEEE14__hip_bfloat16EvS1_PT2_lllS2_IjLj3EElll
; %bb.0:
	s_mov_b32 s10, s7
	s_clause 0x1
	s_load_dword s7, s[4:5], 0x5c
	s_load_dwordx4 s[0:3], s[4:5], 0x10
	v_mov_b32_e32 v1, 0
	s_add_u32 s24, s4, 0x50
	s_addc_u32 s25, s5, 0
	s_waitcnt lgkmcnt(0)
	s_and_b32 s7, s7, 0xffff
	v_mad_u64_u32 v[2:3], null, s7, s6, v[0:1]
	s_mov_b32 s6, exec_lo
	v_lshlrev_b64 v[0:1], 1, v[2:3]
	v_cmpx_gt_i64_e64 s[0:1], v[0:1]
	s_cbranch_execz .LBB50_7
; %bb.1:
	s_load_dwordx2 s[6:7], s[4:5], 0x20
	s_mov_b32 s11, 0
	v_cmp_le_i64_e64 s9, s[2:3], s[10:11]
	s_and_b32 vcc_lo, exec_lo, s9
	s_cbranch_vccnz .LBB50_7
; %bb.2:
	s_mul_i32 s9, s3, s8
	s_mul_hi_u32 s12, s2, s8
	s_mul_i32 s13, s2, s8
	s_add_i32 s12, s12, s9
	v_lshrrev_b64 v[0:1], 4, v[2:3]
	s_add_u32 s9, s13, s10
	s_load_dwordx4 s[20:23], s[4:5], 0x0
	s_addc_u32 s12, s12, 0
	s_mul_hi_u32 s27, s0, s9
	s_mul_i32 s26, s0, s12
	s_load_dword s28, s[24:25], 0x4
	s_load_dwordx8 s[12:19], s[4:5], 0x28
	s_waitcnt lgkmcnt(0)
	s_add_i32 s15, s27, s26
	s_mul_i32 s26, s1, s9
	v_and_b32_e32 v6, 15, v2
	v_lshlrev_b64 v[2:3], 6, v[0:1]
	s_add_i32 s27, s15, s26
	s_mul_i32 s26, s0, s9
	s_load_dwordx2 s[4:5], s[4:5], 0x48
	s_lshl_b64 s[26:27], s[26:27], 1
	v_lshlrev_b32_e32 v4, 1, v6
	v_add_co_u32 v2, vcc_lo, s26, v2
	v_add_co_ci_u32_e64 v3, null, s27, v3, vcc_lo
	s_mul_hi_u32 s26, s2, s0
	v_add_co_u32 v2, vcc_lo, v2, v4
	v_add_co_ci_u32_e64 v3, null, 0, v3, vcc_lo
	s_mul_i32 s15, s1, s28
	v_add_co_u32 v2, vcc_lo, s22, v2
	v_add_co_ci_u32_e64 v3, null, s23, v3, vcc_lo
	s_mul_hi_u32 s22, s0, s28
	s_mul_i32 s1, s2, s1
	s_mov_b32 s9, s11
	s_add_i32 s23, s22, s15
	s_add_i32 s1, s26, s1
	s_mul_i32 s15, s3, s0
	v_add_co_u32 v2, vcc_lo, v2, 32
	s_add_i32 s27, s1, s15
	v_cmp_gt_i64_e64 s1, s[6:7], s[8:9]
	v_add_nc_u32_e32 v7, 12, v6
	v_add_co_ci_u32_e64 v3, null, 0, v3, vcc_lo
	s_mul_i32 s22, s0, s28
	s_mul_i32 s26, s2, s0
	s_lshl_b64 s[22:23], s[22:23], 1
	s_lshl_b64 s[26:27], s[26:27], 1
	s_sub_i32 s29, 0, s14
	s_branch .LBB50_4
.LBB50_3:                               ;   in Loop: Header=BB50_4 Depth=1
	s_add_u32 s10, s10, s28
	s_addc_u32 s11, s11, 0
	v_add_co_u32 v2, vcc_lo, v2, s22
	v_cmp_ge_i64_e64 s0, s[10:11], s[2:3]
	v_add_co_ci_u32_e64 v3, null, s23, v3, vcc_lo
	s_and_b32 vcc_lo, exec_lo, s0
	s_cbranch_vccnz .LBB50_7
.LBB50_4:                               ; =>This Loop Header: Depth=1
                                        ;     Child Loop BB50_6 Depth 2
	s_andn2_b32 vcc_lo, exec_lo, s1
	s_cbranch_vccnz .LBB50_3
; %bb.5:                                ;   in Loop: Header=BB50_4 Depth=1
	s_load_dword s30, s[24:25], 0x8
	s_mul_i32 s0, s10, s17
	s_mul_hi_u32 s14, s10, s16
	s_mul_i32 s15, s11, s16
	s_add_i32 s0, s14, s0
	s_mul_i32 s31, s10, s16
	s_add_i32 s0, s0, s15
	v_mov_b32_e32 v5, v3
	s_mul_hi_u32 s33, s31, 22
	s_mul_i32 s0, s0, 22
	v_mov_b32_e32 v4, v2
	s_add_i32 s33, s33, s0
	s_mul_i32 s31, s31, 22
	s_waitcnt lgkmcnt(0)
	s_mul_i32 s0, s27, s30
	s_mul_hi_u32 s14, s26, s30
	s_mul_i32 s34, s26, s30
	s_add_i32 s35, s14, s0
	s_mov_b64 s[14:15], s[8:9]
.LBB50_6:                               ;   Parent Loop BB50_4 Depth=1
                                        ; =>  This Inner Loop Header: Depth=2
	s_mul_hi_u32 s0, s12, s14
	s_add_i32 s0, s14, s0
	s_lshr_b32 s0, s0, s13
	s_mul_i32 s36, s29, s0
	s_mul_i32 s37, s5, s0
	s_mul_hi_u32 s38, s4, s0
	s_add_i32 s36, s14, s36
	s_mul_i32 s0, s4, s0
	s_add_i32 s37, s38, s37
	s_mul_i32 s39, s19, s36
	s_mul_hi_u32 s40, s18, s36
	s_mul_hi_u32 s38, s0, 22
	s_mul_i32 s36, s18, s36
	s_mul_i32 s37, s37, 22
	s_add_i32 s39, s40, s39
	s_mul_i32 s0, s0, 22
	s_add_i32 s38, s38, s37
	s_mul_hi_u32 s37, s36, 22
	s_mul_i32 s39, s39, 22
	s_mul_i32 s36, s36, 22
	s_add_u32 s0, s20, s0
	s_addc_u32 s38, s21, s38
	s_add_i32 s37, s37, s39
	s_add_u32 s0, s0, s36
	s_addc_u32 s37, s38, s37
	s_add_u32 s36, s0, s31
	s_addc_u32 s37, s37, s33
	s_add_u32 s14, s14, s30
	v_mad_u64_u32 v[8:9], null, v0, 22, s[36:37]
	s_addc_u32 s15, s15, 0
	v_cmp_ge_i64_e64 s0, s[14:15], s[6:7]
	v_mad_u64_u32 v[10:11], null, v1, 22, v[9:10]
	v_add_co_u32 v11, vcc_lo, v8, v6
	v_mov_b32_e32 v9, v10
	v_add_co_ci_u32_e64 v12, null, 0, v10, vcc_lo
	s_clause 0x2
	global_load_dword v10, v[8:9], off
	global_load_ushort v8, v[8:9], off offset:4
	global_load_ubyte v9, v[11:12], off offset:6
	s_and_b32 vcc_lo, exec_lo, s0
	s_waitcnt vmcnt(1)
	v_perm_b32 v8, v10, v8, 0x1000706
	s_waitcnt vmcnt(0)
	v_lshrrev_b16 v11, 4, v9
	v_or_b32_e32 v9, -16, v9
	v_cvt_f32_f16_e32 v10, v10
	v_lshrrev_b32_e32 v12, v6, v8
	v_lshrrev_b32_e32 v8, v7, v8
	v_or_b32_e32 v11, -16, v11
	v_lshlrev_b32_e32 v12, 4, v12
	v_and_b32_e32 v8, 16, v8
	v_and_b32_e32 v12, 16, v12
	v_add_nc_u32_sdwa v8, v8, sext(v11) dst_sel:DWORD dst_unused:UNUSED_PAD src0_sel:DWORD src1_sel:WORD_0
	v_add_nc_u32_e32 v9, v9, v12
	v_cvt_f32_i32_e32 v8, v8
	v_cvt_f32_i32_e32 v9, v9
	v_mul_f32_e32 v8, v10, v8
	v_mul_f32_e32 v9, v10, v9
	v_bfe_u32 v10, v8, 16, 1
	v_or_b32_e32 v11, 0x400000, v8
	v_cmp_u_f32_e64 s0, v8, v8
	v_bfe_u32 v12, v9, 16, 1
	v_add3_u32 v10, v10, v8, 0x7fff
	v_or_b32_e32 v13, 0x400000, v9
	v_add3_u32 v8, v12, v9, 0x7fff
	v_cndmask_b32_e64 v10, v10, v11, s0
	v_cmp_u_f32_e64 s0, v9, v9
	v_cndmask_b32_e64 v8, v8, v13, s0
	global_store_short_d16_hi v[4:5], v10, off
	global_store_short_d16_hi v[4:5], v8, off offset:-32
	v_add_co_u32 v4, s0, v4, s34
	v_add_co_ci_u32_e64 v5, null, s35, v5, s0
	s_cbranch_vccz .LBB50_6
	s_branch .LBB50_3
.LBB50_7:
	s_endpgm
	.section	.rodata,"a",@progbits
	.p2align	6, 0x0
	.amdhsa_kernel _ZL16dequantize_blockILi32ELi2EXadL_ZL15dequantize_q5_0PKvliR15HIP_vector_typeIfLj2EEEE14__hip_bfloat16EvS1_PT2_lllS2_IjLj3EElll
		.amdhsa_group_segment_fixed_size 0
		.amdhsa_private_segment_fixed_size 0
		.amdhsa_kernarg_size 336
		.amdhsa_user_sgpr_count 6
		.amdhsa_user_sgpr_private_segment_buffer 1
		.amdhsa_user_sgpr_dispatch_ptr 0
		.amdhsa_user_sgpr_queue_ptr 0
		.amdhsa_user_sgpr_kernarg_segment_ptr 1
		.amdhsa_user_sgpr_dispatch_id 0
		.amdhsa_user_sgpr_flat_scratch_init 0
		.amdhsa_user_sgpr_private_segment_size 0
		.amdhsa_wavefront_size32 1
		.amdhsa_uses_dynamic_stack 0
		.amdhsa_system_sgpr_private_segment_wavefront_offset 0
		.amdhsa_system_sgpr_workgroup_id_x 1
		.amdhsa_system_sgpr_workgroup_id_y 1
		.amdhsa_system_sgpr_workgroup_id_z 1
		.amdhsa_system_sgpr_workgroup_info 0
		.amdhsa_system_vgpr_workitem_id 0
		.amdhsa_next_free_vgpr 14
		.amdhsa_next_free_sgpr 41
		.amdhsa_reserve_vcc 1
		.amdhsa_reserve_flat_scratch 0
		.amdhsa_float_round_mode_32 0
		.amdhsa_float_round_mode_16_64 0
		.amdhsa_float_denorm_mode_32 3
		.amdhsa_float_denorm_mode_16_64 3
		.amdhsa_dx10_clamp 1
		.amdhsa_ieee_mode 1
		.amdhsa_fp16_overflow 0
		.amdhsa_workgroup_processor_mode 1
		.amdhsa_memory_ordered 1
		.amdhsa_forward_progress 1
		.amdhsa_shared_vgpr_count 0
		.amdhsa_exception_fp_ieee_invalid_op 0
		.amdhsa_exception_fp_denorm_src 0
		.amdhsa_exception_fp_ieee_div_zero 0
		.amdhsa_exception_fp_ieee_overflow 0
		.amdhsa_exception_fp_ieee_underflow 0
		.amdhsa_exception_fp_ieee_inexact 0
		.amdhsa_exception_int_div_zero 0
	.end_amdhsa_kernel
	.section	.text._ZL16dequantize_blockILi32ELi2EXadL_ZL15dequantize_q5_0PKvliR15HIP_vector_typeIfLj2EEEE14__hip_bfloat16EvS1_PT2_lllS2_IjLj3EElll,"axG",@progbits,_ZL16dequantize_blockILi32ELi2EXadL_ZL15dequantize_q5_0PKvliR15HIP_vector_typeIfLj2EEEE14__hip_bfloat16EvS1_PT2_lllS2_IjLj3EElll,comdat
.Lfunc_end50:
	.size	_ZL16dequantize_blockILi32ELi2EXadL_ZL15dequantize_q5_0PKvliR15HIP_vector_typeIfLj2EEEE14__hip_bfloat16EvS1_PT2_lllS2_IjLj3EElll, .Lfunc_end50-_ZL16dequantize_blockILi32ELi2EXadL_ZL15dequantize_q5_0PKvliR15HIP_vector_typeIfLj2EEEE14__hip_bfloat16EvS1_PT2_lllS2_IjLj3EElll
                                        ; -- End function
	.set _ZL16dequantize_blockILi32ELi2EXadL_ZL15dequantize_q5_0PKvliR15HIP_vector_typeIfLj2EEEE14__hip_bfloat16EvS1_PT2_lllS2_IjLj3EElll.num_vgpr, 14
	.set _ZL16dequantize_blockILi32ELi2EXadL_ZL15dequantize_q5_0PKvliR15HIP_vector_typeIfLj2EEEE14__hip_bfloat16EvS1_PT2_lllS2_IjLj3EElll.num_agpr, 0
	.set _ZL16dequantize_blockILi32ELi2EXadL_ZL15dequantize_q5_0PKvliR15HIP_vector_typeIfLj2EEEE14__hip_bfloat16EvS1_PT2_lllS2_IjLj3EElll.numbered_sgpr, 41
	.set _ZL16dequantize_blockILi32ELi2EXadL_ZL15dequantize_q5_0PKvliR15HIP_vector_typeIfLj2EEEE14__hip_bfloat16EvS1_PT2_lllS2_IjLj3EElll.num_named_barrier, 0
	.set _ZL16dequantize_blockILi32ELi2EXadL_ZL15dequantize_q5_0PKvliR15HIP_vector_typeIfLj2EEEE14__hip_bfloat16EvS1_PT2_lllS2_IjLj3EElll.private_seg_size, 0
	.set _ZL16dequantize_blockILi32ELi2EXadL_ZL15dequantize_q5_0PKvliR15HIP_vector_typeIfLj2EEEE14__hip_bfloat16EvS1_PT2_lllS2_IjLj3EElll.uses_vcc, 1
	.set _ZL16dequantize_blockILi32ELi2EXadL_ZL15dequantize_q5_0PKvliR15HIP_vector_typeIfLj2EEEE14__hip_bfloat16EvS1_PT2_lllS2_IjLj3EElll.uses_flat_scratch, 0
	.set _ZL16dequantize_blockILi32ELi2EXadL_ZL15dequantize_q5_0PKvliR15HIP_vector_typeIfLj2EEEE14__hip_bfloat16EvS1_PT2_lllS2_IjLj3EElll.has_dyn_sized_stack, 0
	.set _ZL16dequantize_blockILi32ELi2EXadL_ZL15dequantize_q5_0PKvliR15HIP_vector_typeIfLj2EEEE14__hip_bfloat16EvS1_PT2_lllS2_IjLj3EElll.has_recursion, 0
	.set _ZL16dequantize_blockILi32ELi2EXadL_ZL15dequantize_q5_0PKvliR15HIP_vector_typeIfLj2EEEE14__hip_bfloat16EvS1_PT2_lllS2_IjLj3EElll.has_indirect_call, 0
	.section	.AMDGPU.csdata,"",@progbits
; Kernel info:
; codeLenInByte = 900
; TotalNumSgprs: 43
; NumVgprs: 14
; ScratchSize: 0
; MemoryBound: 0
; FloatMode: 240
; IeeeMode: 1
; LDSByteSize: 0 bytes/workgroup (compile time only)
; SGPRBlocks: 0
; VGPRBlocks: 1
; NumSGPRsForWavesPerEU: 43
; NumVGPRsForWavesPerEU: 14
; Occupancy: 16
; WaveLimiterHint : 0
; COMPUTE_PGM_RSRC2:SCRATCH_EN: 0
; COMPUTE_PGM_RSRC2:USER_SGPR: 6
; COMPUTE_PGM_RSRC2:TRAP_HANDLER: 0
; COMPUTE_PGM_RSRC2:TGID_X_EN: 1
; COMPUTE_PGM_RSRC2:TGID_Y_EN: 1
; COMPUTE_PGM_RSRC2:TGID_Z_EN: 1
; COMPUTE_PGM_RSRC2:TIDIG_COMP_CNT: 0
	.section	.text._ZL16dequantize_blockILi32ELi2EXadL_ZL15dequantize_q5_1PKvliR15HIP_vector_typeIfLj2EEEE14__hip_bfloat16EvS1_PT2_lllS2_IjLj3EElll,"axG",@progbits,_ZL16dequantize_blockILi32ELi2EXadL_ZL15dequantize_q5_1PKvliR15HIP_vector_typeIfLj2EEEE14__hip_bfloat16EvS1_PT2_lllS2_IjLj3EElll,comdat
	.globl	_ZL16dequantize_blockILi32ELi2EXadL_ZL15dequantize_q5_1PKvliR15HIP_vector_typeIfLj2EEEE14__hip_bfloat16EvS1_PT2_lllS2_IjLj3EElll ; -- Begin function _ZL16dequantize_blockILi32ELi2EXadL_ZL15dequantize_q5_1PKvliR15HIP_vector_typeIfLj2EEEE14__hip_bfloat16EvS1_PT2_lllS2_IjLj3EElll
	.p2align	8
	.type	_ZL16dequantize_blockILi32ELi2EXadL_ZL15dequantize_q5_1PKvliR15HIP_vector_typeIfLj2EEEE14__hip_bfloat16EvS1_PT2_lllS2_IjLj3EElll,@function
_ZL16dequantize_blockILi32ELi2EXadL_ZL15dequantize_q5_1PKvliR15HIP_vector_typeIfLj2EEEE14__hip_bfloat16EvS1_PT2_lllS2_IjLj3EElll: ; @_ZL16dequantize_blockILi32ELi2EXadL_ZL15dequantize_q5_1PKvliR15HIP_vector_typeIfLj2EEEE14__hip_bfloat16EvS1_PT2_lllS2_IjLj3EElll
; %bb.0:
	s_mov_b32 s10, s7
	s_clause 0x1
	s_load_dword s7, s[4:5], 0x5c
	s_load_dwordx4 s[0:3], s[4:5], 0x10
	v_mov_b32_e32 v1, 0
	s_add_u32 s24, s4, 0x50
	s_addc_u32 s25, s5, 0
	s_waitcnt lgkmcnt(0)
	s_and_b32 s7, s7, 0xffff
	v_mad_u64_u32 v[2:3], null, s7, s6, v[0:1]
	s_mov_b32 s6, exec_lo
	v_lshlrev_b64 v[0:1], 1, v[2:3]
	v_cmpx_gt_i64_e64 s[0:1], v[0:1]
	s_cbranch_execz .LBB51_7
; %bb.1:
	s_load_dwordx2 s[6:7], s[4:5], 0x20
	s_mov_b32 s11, 0
	v_cmp_le_i64_e64 s9, s[2:3], s[10:11]
	s_and_b32 vcc_lo, exec_lo, s9
	s_cbranch_vccnz .LBB51_7
; %bb.2:
	s_mul_i32 s9, s3, s8
	s_mul_hi_u32 s12, s2, s8
	s_mul_i32 s13, s2, s8
	s_add_i32 s12, s12, s9
	v_lshrrev_b64 v[0:1], 4, v[2:3]
	s_add_u32 s9, s13, s10
	s_load_dwordx4 s[20:23], s[4:5], 0x0
	s_addc_u32 s12, s12, 0
	s_mul_hi_u32 s27, s0, s9
	s_mul_i32 s26, s0, s12
	s_load_dword s28, s[24:25], 0x4
	s_load_dwordx8 s[12:19], s[4:5], 0x28
	s_waitcnt lgkmcnt(0)
	s_add_i32 s15, s27, s26
	s_mul_i32 s26, s1, s9
	v_and_b32_e32 v6, 15, v2
	v_lshlrev_b64 v[2:3], 6, v[0:1]
	s_add_i32 s27, s15, s26
	s_mul_i32 s26, s0, s9
	s_load_dwordx2 s[4:5], s[4:5], 0x48
	s_lshl_b64 s[26:27], s[26:27], 1
	v_lshlrev_b32_e32 v4, 1, v6
	v_add_co_u32 v2, vcc_lo, s26, v2
	v_add_co_ci_u32_e64 v3, null, s27, v3, vcc_lo
	s_mul_hi_u32 s26, s2, s0
	v_add_co_u32 v2, vcc_lo, v2, v4
	v_add_co_ci_u32_e64 v3, null, 0, v3, vcc_lo
	s_mul_i32 s15, s1, s28
	v_add_co_u32 v2, vcc_lo, s22, v2
	v_add_co_ci_u32_e64 v3, null, s23, v3, vcc_lo
	s_mul_hi_u32 s22, s0, s28
	s_mul_i32 s1, s2, s1
	s_mov_b32 s9, s11
	s_add_i32 s23, s22, s15
	s_add_i32 s1, s26, s1
	s_mul_i32 s15, s3, s0
	v_add_co_u32 v2, vcc_lo, v2, 32
	s_add_i32 s27, s1, s15
	v_cmp_gt_i64_e64 s1, s[6:7], s[8:9]
	v_add_nc_u32_e32 v7, 12, v6
	v_add_co_ci_u32_e64 v3, null, 0, v3, vcc_lo
	s_mul_i32 s22, s0, s28
	s_mul_i32 s26, s2, s0
	s_lshl_b64 s[22:23], s[22:23], 1
	s_lshl_b64 s[26:27], s[26:27], 1
	s_sub_i32 s29, 0, s14
	s_branch .LBB51_4
.LBB51_3:                               ;   in Loop: Header=BB51_4 Depth=1
	s_add_u32 s10, s10, s28
	s_addc_u32 s11, s11, 0
	v_add_co_u32 v2, vcc_lo, v2, s22
	v_cmp_ge_i64_e64 s0, s[10:11], s[2:3]
	v_add_co_ci_u32_e64 v3, null, s23, v3, vcc_lo
	s_and_b32 vcc_lo, exec_lo, s0
	s_cbranch_vccnz .LBB51_7
.LBB51_4:                               ; =>This Loop Header: Depth=1
                                        ;     Child Loop BB51_6 Depth 2
	s_andn2_b32 vcc_lo, exec_lo, s1
	s_cbranch_vccnz .LBB51_3
; %bb.5:                                ;   in Loop: Header=BB51_4 Depth=1
	s_load_dword s30, s[24:25], 0x8
	s_mul_i32 s0, s10, s17
	s_mul_hi_u32 s14, s10, s16
	s_mul_i32 s15, s11, s16
	s_add_i32 s0, s14, s0
	s_mul_i32 s31, s10, s16
	s_add_i32 s0, s0, s15
	v_mov_b32_e32 v5, v3
	s_mul_hi_u32 s33, s31, 24
	s_mul_i32 s0, s0, 24
	v_mov_b32_e32 v4, v2
	s_add_i32 s33, s33, s0
	s_mul_i32 s31, s31, 24
	s_waitcnt lgkmcnt(0)
	s_mul_i32 s0, s27, s30
	s_mul_hi_u32 s14, s26, s30
	s_mul_i32 s34, s26, s30
	s_add_i32 s35, s14, s0
	s_mov_b64 s[14:15], s[8:9]
.LBB51_6:                               ;   Parent Loop BB51_4 Depth=1
                                        ; =>  This Inner Loop Header: Depth=2
	s_mul_hi_u32 s0, s12, s14
	s_add_i32 s0, s14, s0
	s_lshr_b32 s0, s0, s13
	s_mul_i32 s36, s29, s0
	s_mul_i32 s37, s5, s0
	s_mul_hi_u32 s38, s4, s0
	s_add_i32 s36, s14, s36
	s_mul_i32 s0, s4, s0
	s_add_i32 s37, s38, s37
	s_mul_i32 s39, s19, s36
	s_mul_hi_u32 s40, s18, s36
	s_mul_hi_u32 s38, s0, 24
	s_mul_i32 s36, s18, s36
	s_mul_i32 s37, s37, 24
	s_add_i32 s39, s40, s39
	s_mul_i32 s0, s0, 24
	s_add_i32 s38, s38, s37
	s_mul_hi_u32 s37, s36, 24
	s_mul_i32 s39, s39, 24
	s_mul_i32 s36, s36, 24
	s_add_u32 s0, s20, s0
	s_addc_u32 s38, s21, s38
	s_add_i32 s37, s37, s39
	s_add_u32 s0, s0, s36
	s_addc_u32 s37, s38, s37
	s_add_u32 s36, s0, s31
	s_addc_u32 s37, s37, s33
	s_add_u32 s14, s14, s30
	v_mad_u64_u32 v[8:9], null, v0, 24, s[36:37]
	s_addc_u32 s15, s15, 0
	v_cmp_ge_i64_e64 s0, s[14:15], s[6:7]
	v_mad_u64_u32 v[10:11], null, v1, 24, v[9:10]
	v_add_co_u32 v11, vcc_lo, v8, v6
	v_mov_b32_e32 v9, v10
	v_add_co_ci_u32_e64 v12, null, 0, v10, vcc_lo
	s_clause 0x1
	global_load_dwordx2 v[8:9], v[8:9], off
	global_load_ubyte v10, v[11:12], off offset:8
	s_and_b32 vcc_lo, exec_lo, s0
	s_waitcnt vmcnt(1)
	v_lshrrev_b32_e32 v11, v6, v9
	v_lshrrev_b32_e32 v9, v7, v9
	s_waitcnt vmcnt(0)
	v_lshrrev_b16 v12, 4, v10
	v_and_b32_e32 v10, 15, v10
	v_lshlrev_b32_e32 v11, 4, v11
	v_and_or_b32 v9, v9, 16, v12
	v_and_or_b32 v10, v11, 16, v10
	v_cvt_f32_ubyte0_e32 v9, v9
	v_cvt_f32_ubyte0_e32 v10, v10
	v_fma_mix_f32 v9, v8, v9, v8 op_sel:[0,0,1] op_sel_hi:[1,0,1]
	v_fma_mix_f32 v8, v8, v10, v8 op_sel:[0,0,1] op_sel_hi:[1,0,1]
	v_bfe_u32 v10, v9, 16, 1
	v_or_b32_e32 v11, 0x400000, v9
	v_cmp_u_f32_e64 s0, v9, v9
	v_bfe_u32 v12, v8, 16, 1
	v_or_b32_e32 v13, 0x400000, v8
	v_add3_u32 v10, v10, v9, 0x7fff
	v_add3_u32 v9, v12, v8, 0x7fff
	v_cndmask_b32_e64 v10, v10, v11, s0
	v_cmp_u_f32_e64 s0, v8, v8
	v_cndmask_b32_e64 v8, v9, v13, s0
	global_store_short_d16_hi v[4:5], v10, off
	global_store_short_d16_hi v[4:5], v8, off offset:-32
	v_add_co_u32 v4, s0, v4, s34
	v_add_co_ci_u32_e64 v5, null, s35, v5, s0
	s_cbranch_vccz .LBB51_6
	s_branch .LBB51_3
.LBB51_7:
	s_endpgm
	.section	.rodata,"a",@progbits
	.p2align	6, 0x0
	.amdhsa_kernel _ZL16dequantize_blockILi32ELi2EXadL_ZL15dequantize_q5_1PKvliR15HIP_vector_typeIfLj2EEEE14__hip_bfloat16EvS1_PT2_lllS2_IjLj3EElll
		.amdhsa_group_segment_fixed_size 0
		.amdhsa_private_segment_fixed_size 0
		.amdhsa_kernarg_size 336
		.amdhsa_user_sgpr_count 6
		.amdhsa_user_sgpr_private_segment_buffer 1
		.amdhsa_user_sgpr_dispatch_ptr 0
		.amdhsa_user_sgpr_queue_ptr 0
		.amdhsa_user_sgpr_kernarg_segment_ptr 1
		.amdhsa_user_sgpr_dispatch_id 0
		.amdhsa_user_sgpr_flat_scratch_init 0
		.amdhsa_user_sgpr_private_segment_size 0
		.amdhsa_wavefront_size32 1
		.amdhsa_uses_dynamic_stack 0
		.amdhsa_system_sgpr_private_segment_wavefront_offset 0
		.amdhsa_system_sgpr_workgroup_id_x 1
		.amdhsa_system_sgpr_workgroup_id_y 1
		.amdhsa_system_sgpr_workgroup_id_z 1
		.amdhsa_system_sgpr_workgroup_info 0
		.amdhsa_system_vgpr_workitem_id 0
		.amdhsa_next_free_vgpr 14
		.amdhsa_next_free_sgpr 41
		.amdhsa_reserve_vcc 1
		.amdhsa_reserve_flat_scratch 0
		.amdhsa_float_round_mode_32 0
		.amdhsa_float_round_mode_16_64 0
		.amdhsa_float_denorm_mode_32 3
		.amdhsa_float_denorm_mode_16_64 3
		.amdhsa_dx10_clamp 1
		.amdhsa_ieee_mode 1
		.amdhsa_fp16_overflow 0
		.amdhsa_workgroup_processor_mode 1
		.amdhsa_memory_ordered 1
		.amdhsa_forward_progress 1
		.amdhsa_shared_vgpr_count 0
		.amdhsa_exception_fp_ieee_invalid_op 0
		.amdhsa_exception_fp_denorm_src 0
		.amdhsa_exception_fp_ieee_div_zero 0
		.amdhsa_exception_fp_ieee_overflow 0
		.amdhsa_exception_fp_ieee_underflow 0
		.amdhsa_exception_fp_ieee_inexact 0
		.amdhsa_exception_int_div_zero 0
	.end_amdhsa_kernel
	.section	.text._ZL16dequantize_blockILi32ELi2EXadL_ZL15dequantize_q5_1PKvliR15HIP_vector_typeIfLj2EEEE14__hip_bfloat16EvS1_PT2_lllS2_IjLj3EElll,"axG",@progbits,_ZL16dequantize_blockILi32ELi2EXadL_ZL15dequantize_q5_1PKvliR15HIP_vector_typeIfLj2EEEE14__hip_bfloat16EvS1_PT2_lllS2_IjLj3EElll,comdat
.Lfunc_end51:
	.size	_ZL16dequantize_blockILi32ELi2EXadL_ZL15dequantize_q5_1PKvliR15HIP_vector_typeIfLj2EEEE14__hip_bfloat16EvS1_PT2_lllS2_IjLj3EElll, .Lfunc_end51-_ZL16dequantize_blockILi32ELi2EXadL_ZL15dequantize_q5_1PKvliR15HIP_vector_typeIfLj2EEEE14__hip_bfloat16EvS1_PT2_lllS2_IjLj3EElll
                                        ; -- End function
	.set _ZL16dequantize_blockILi32ELi2EXadL_ZL15dequantize_q5_1PKvliR15HIP_vector_typeIfLj2EEEE14__hip_bfloat16EvS1_PT2_lllS2_IjLj3EElll.num_vgpr, 14
	.set _ZL16dequantize_blockILi32ELi2EXadL_ZL15dequantize_q5_1PKvliR15HIP_vector_typeIfLj2EEEE14__hip_bfloat16EvS1_PT2_lllS2_IjLj3EElll.num_agpr, 0
	.set _ZL16dequantize_blockILi32ELi2EXadL_ZL15dequantize_q5_1PKvliR15HIP_vector_typeIfLj2EEEE14__hip_bfloat16EvS1_PT2_lllS2_IjLj3EElll.numbered_sgpr, 41
	.set _ZL16dequantize_blockILi32ELi2EXadL_ZL15dequantize_q5_1PKvliR15HIP_vector_typeIfLj2EEEE14__hip_bfloat16EvS1_PT2_lllS2_IjLj3EElll.num_named_barrier, 0
	.set _ZL16dequantize_blockILi32ELi2EXadL_ZL15dequantize_q5_1PKvliR15HIP_vector_typeIfLj2EEEE14__hip_bfloat16EvS1_PT2_lllS2_IjLj3EElll.private_seg_size, 0
	.set _ZL16dequantize_blockILi32ELi2EXadL_ZL15dequantize_q5_1PKvliR15HIP_vector_typeIfLj2EEEE14__hip_bfloat16EvS1_PT2_lllS2_IjLj3EElll.uses_vcc, 1
	.set _ZL16dequantize_blockILi32ELi2EXadL_ZL15dequantize_q5_1PKvliR15HIP_vector_typeIfLj2EEEE14__hip_bfloat16EvS1_PT2_lllS2_IjLj3EElll.uses_flat_scratch, 0
	.set _ZL16dequantize_blockILi32ELi2EXadL_ZL15dequantize_q5_1PKvliR15HIP_vector_typeIfLj2EEEE14__hip_bfloat16EvS1_PT2_lllS2_IjLj3EElll.has_dyn_sized_stack, 0
	.set _ZL16dequantize_blockILi32ELi2EXadL_ZL15dequantize_q5_1PKvliR15HIP_vector_typeIfLj2EEEE14__hip_bfloat16EvS1_PT2_lllS2_IjLj3EElll.has_recursion, 0
	.set _ZL16dequantize_blockILi32ELi2EXadL_ZL15dequantize_q5_1PKvliR15HIP_vector_typeIfLj2EEEE14__hip_bfloat16EvS1_PT2_lllS2_IjLj3EElll.has_indirect_call, 0
	.section	.AMDGPU.csdata,"",@progbits
; Kernel info:
; codeLenInByte = 876
; TotalNumSgprs: 43
; NumVgprs: 14
; ScratchSize: 0
; MemoryBound: 0
; FloatMode: 240
; IeeeMode: 1
; LDSByteSize: 0 bytes/workgroup (compile time only)
; SGPRBlocks: 0
; VGPRBlocks: 1
; NumSGPRsForWavesPerEU: 43
; NumVGPRsForWavesPerEU: 14
; Occupancy: 16
; WaveLimiterHint : 0
; COMPUTE_PGM_RSRC2:SCRATCH_EN: 0
; COMPUTE_PGM_RSRC2:USER_SGPR: 6
; COMPUTE_PGM_RSRC2:TRAP_HANDLER: 0
; COMPUTE_PGM_RSRC2:TGID_X_EN: 1
; COMPUTE_PGM_RSRC2:TGID_Y_EN: 1
; COMPUTE_PGM_RSRC2:TGID_Z_EN: 1
; COMPUTE_PGM_RSRC2:TIDIG_COMP_CNT: 0
	.section	.text._ZL16dequantize_blockILi32ELi1EXadL_ZL15dequantize_q8_0PKvliR15HIP_vector_typeIfLj2EEEE14__hip_bfloat16EvS1_PT2_lllS2_IjLj3EElll,"axG",@progbits,_ZL16dequantize_blockILi32ELi1EXadL_ZL15dequantize_q8_0PKvliR15HIP_vector_typeIfLj2EEEE14__hip_bfloat16EvS1_PT2_lllS2_IjLj3EElll,comdat
	.globl	_ZL16dequantize_blockILi32ELi1EXadL_ZL15dequantize_q8_0PKvliR15HIP_vector_typeIfLj2EEEE14__hip_bfloat16EvS1_PT2_lllS2_IjLj3EElll ; -- Begin function _ZL16dequantize_blockILi32ELi1EXadL_ZL15dequantize_q8_0PKvliR15HIP_vector_typeIfLj2EEEE14__hip_bfloat16EvS1_PT2_lllS2_IjLj3EElll
	.p2align	8
	.type	_ZL16dequantize_blockILi32ELi1EXadL_ZL15dequantize_q8_0PKvliR15HIP_vector_typeIfLj2EEEE14__hip_bfloat16EvS1_PT2_lllS2_IjLj3EElll,@function
_ZL16dequantize_blockILi32ELi1EXadL_ZL15dequantize_q8_0PKvliR15HIP_vector_typeIfLj2EEEE14__hip_bfloat16EvS1_PT2_lllS2_IjLj3EElll: ; @_ZL16dequantize_blockILi32ELi1EXadL_ZL15dequantize_q8_0PKvliR15HIP_vector_typeIfLj2EEEE14__hip_bfloat16EvS1_PT2_lllS2_IjLj3EElll
; %bb.0:
	s_mov_b32 s10, s7
	s_clause 0x1
	s_load_dword s7, s[4:5], 0x5c
	s_load_dwordx4 s[0:3], s[4:5], 0x10
	v_mov_b32_e32 v1, 0
	s_add_u32 s24, s4, 0x50
	s_addc_u32 s25, s5, 0
	s_waitcnt lgkmcnt(0)
	s_and_b32 s9, s7, 0xffff
	v_mad_u64_u32 v[1:2], null, s9, s6, v[0:1]
	s_mov_b32 s9, exec_lo
	v_lshlrev_b64 v[3:4], 1, v[1:2]
	v_cmpx_gt_i64_e64 s[0:1], v[3:4]
	s_cbranch_execz .LBB52_7
; %bb.1:
	s_load_dwordx2 s[26:27], s[4:5], 0x20
	s_mov_b32 s11, 0
	v_cmp_le_i64_e64 s9, s[2:3], s[10:11]
	s_and_b32 vcc_lo, exec_lo, s9
	s_cbranch_vccnz .LBB52_7
; %bb.2:
	s_mul_i32 s9, s3, s8
	s_mul_hi_u32 s12, s2, s8
	s_mul_i32 s13, s2, s8
	s_add_i32 s12, s12, s9
	v_lshrrev_b64 v[1:2], 4, v[1:2]
	s_mul_i32 s6, s6, s7
	s_add_u32 s9, s13, s10
	s_load_dwordx4 s[20:23], s[4:5], 0x0
	s_addc_u32 s12, s12, 0
	v_add_nc_u16 v0, s6, v0
	s_mul_i32 s12, s0, s12
	s_mul_hi_u32 s7, s0, s9
	v_lshlrev_b64 v[4:5], 6, v[1:2]
	s_add_i32 s6, s7, s12
	s_mul_i32 s7, s1, s9
	s_load_dword s28, s[24:25], 0x4
	v_and_b32_e32 v0, 15, v0
	s_add_i32 s7, s6, s7
	s_mul_i32 s6, s0, s9
	s_load_dwordx8 s[12:19], s[4:5], 0x28
	s_lshl_b64 s[6:7], s[6:7], 1
	v_lshlrev_b32_e32 v0, 2, v0
	v_add_co_u32 v4, vcc_lo, s6, v4
	v_add_co_ci_u32_e64 v5, null, s7, v5, vcc_lo
	s_load_dwordx2 s[4:5], s[4:5], 0x48
	v_add_co_u32 v0, vcc_lo, v4, v0
	v_add_co_ci_u32_e64 v4, null, 0, v5, vcc_lo
	s_mov_b32 s9, s11
	s_waitcnt lgkmcnt(0)
	v_add_co_u32 v5, vcc_lo, s22, v0
	v_add_co_ci_u32_e64 v4, null, s23, v4, vcc_lo
	s_mul_i32 s6, s1, s28
	s_mul_i32 s1, s2, s1
	s_mul_hi_u32 s15, s2, s0
	v_and_b32_e32 v0, 30, v3
	v_add_co_u32 v3, vcc_lo, v5, 2
	s_mul_hi_u32 s7, s0, s28
	s_add_i32 s1, s15, s1
	s_mul_i32 s15, s3, s0
	v_cmp_gt_i64_e64 s29, s[26:27], s[8:9]
	v_add_co_ci_u32_e64 v4, null, 0, v4, vcc_lo
	s_add_i32 s7, s7, s6
	s_mul_i32 s6, s0, s28
	s_add_i32 s1, s1, s15
	s_mul_i32 s0, s2, s0
	s_lshl_b64 s[6:7], s[6:7], 1
	s_lshl_b64 s[22:23], s[0:1], 1
	s_sub_i32 s30, 0, s14
	s_branch .LBB52_4
.LBB52_3:                               ;   in Loop: Header=BB52_4 Depth=1
	s_add_u32 s10, s10, s28
	s_addc_u32 s11, s11, 0
	v_add_co_u32 v3, vcc_lo, v3, s6
	v_cmp_ge_i64_e64 s0, s[10:11], s[2:3]
	v_add_co_ci_u32_e64 v4, null, s7, v4, vcc_lo
	s_and_b32 vcc_lo, exec_lo, s0
	s_cbranch_vccnz .LBB52_7
.LBB52_4:                               ; =>This Loop Header: Depth=1
                                        ;     Child Loop BB52_6 Depth 2
	s_andn2_b32 vcc_lo, exec_lo, s29
	s_cbranch_vccnz .LBB52_3
; %bb.5:                                ;   in Loop: Header=BB52_4 Depth=1
	s_load_dword s31, s[24:25], 0x8
	s_mul_i32 s0, s10, s17
	s_mul_hi_u32 s1, s10, s16
	s_mul_i32 s14, s11, s16
	s_add_i32 s0, s1, s0
	s_mul_i32 s15, s10, s16
	s_add_i32 s0, s0, s14
	v_mov_b32_e32 v6, v4
	s_mul_hi_u32 s34, s15, 34
	s_mul_i32 s0, s0, 34
	v_mov_b32_e32 v5, v3
	s_add_i32 s34, s34, s0
	s_mul_i32 s33, s15, 34
	s_mov_b64 s[14:15], s[8:9]
	s_waitcnt lgkmcnt(0)
	s_mul_i32 s0, s23, s31
	s_mul_hi_u32 s1, s22, s31
	s_mul_i32 s35, s22, s31
	s_add_i32 s36, s1, s0
.LBB52_6:                               ;   Parent Loop BB52_4 Depth=1
                                        ; =>  This Inner Loop Header: Depth=2
	s_mul_hi_u32 s0, s12, s14
	s_add_i32 s0, s14, s0
	s_lshr_b32 s0, s0, s13
	s_mul_i32 s1, s30, s0
	s_mul_i32 s37, s5, s0
	s_mul_hi_u32 s38, s4, s0
	s_add_i32 s1, s14, s1
	s_mul_i32 s0, s4, s0
	s_add_i32 s37, s38, s37
	s_mul_i32 s39, s19, s1
	s_mul_hi_u32 s40, s18, s1
	s_mul_hi_u32 s38, s0, 34
	s_mul_i32 s1, s18, s1
	s_mul_i32 s37, s37, 34
	s_add_i32 s39, s40, s39
	s_mul_i32 s0, s0, 34
	s_add_i32 s38, s38, s37
	s_mul_hi_u32 s37, s1, 34
	s_mul_i32 s39, s39, 34
	s_mul_i32 s1, s1, 34
	s_add_u32 s0, s20, s0
	s_addc_u32 s38, s21, s38
	s_add_i32 s37, s37, s39
	s_add_u32 s0, s0, s1
	s_addc_u32 s1, s38, s37
	s_add_u32 s0, s0, s33
	s_addc_u32 s1, s1, s34
	s_add_u32 s14, s14, s31
	v_mad_u64_u32 v[7:8], null, v1, 34, s[0:1]
	s_addc_u32 s15, s15, 0
	v_cmp_ge_i64_e64 s0, s[14:15], s[26:27]
	v_mad_u64_u32 v[8:9], null, v2, 34, v[8:9]
	v_add_co_u32 v9, vcc_lo, v7, v0
	v_add_co_ci_u32_e64 v10, null, 0, v8, vcc_lo
	s_clause 0x1
	global_load_ushort v9, v[9:10], off offset:2
	global_load_ushort v7, v[7:8], off
	s_and_b32 vcc_lo, exec_lo, s0
	s_waitcnt vmcnt(1)
	v_bfe_i32 v8, v9, 0, 8
	v_ashrrev_i16 v9, 8, v9
	s_waitcnt vmcnt(0)
	v_cvt_f32_f16_e32 v7, v7
	v_cvt_f32_i32_sdwa v8, sext(v8) dst_sel:DWORD dst_unused:UNUSED_PAD src0_sel:WORD_0
	v_cvt_f32_i32_sdwa v9, sext(v9) dst_sel:DWORD dst_unused:UNUSED_PAD src0_sel:WORD_0
	v_mul_f32_e32 v8, v7, v8
	v_mul_f32_e32 v7, v7, v9
	v_bfe_u32 v9, v8, 16, 1
	v_bfe_u32 v10, v7, 16, 1
	v_or_b32_e32 v11, 0x400000, v8
	v_or_b32_e32 v12, 0x400000, v7
	v_cmp_u_f32_e64 s0, v7, v7
	v_add3_u32 v9, v9, v8, 0x7fff
	v_add3_u32 v10, v10, v7, 0x7fff
	v_cmp_u_f32_e64 s1, v8, v8
	v_cndmask_b32_e64 v8, v10, v12, s0
	v_cndmask_b32_e64 v7, v9, v11, s1
	v_perm_b32 v7, v8, v7, 0x7060302
	global_store_dword v[5:6], v7, off offset:-2
	v_add_co_u32 v5, s0, v5, s35
	v_add_co_ci_u32_e64 v6, null, s36, v6, s0
	s_cbranch_vccz .LBB52_6
	s_branch .LBB52_3
.LBB52_7:
	s_endpgm
	.section	.rodata,"a",@progbits
	.p2align	6, 0x0
	.amdhsa_kernel _ZL16dequantize_blockILi32ELi1EXadL_ZL15dequantize_q8_0PKvliR15HIP_vector_typeIfLj2EEEE14__hip_bfloat16EvS1_PT2_lllS2_IjLj3EElll
		.amdhsa_group_segment_fixed_size 0
		.amdhsa_private_segment_fixed_size 0
		.amdhsa_kernarg_size 336
		.amdhsa_user_sgpr_count 6
		.amdhsa_user_sgpr_private_segment_buffer 1
		.amdhsa_user_sgpr_dispatch_ptr 0
		.amdhsa_user_sgpr_queue_ptr 0
		.amdhsa_user_sgpr_kernarg_segment_ptr 1
		.amdhsa_user_sgpr_dispatch_id 0
		.amdhsa_user_sgpr_flat_scratch_init 0
		.amdhsa_user_sgpr_private_segment_size 0
		.amdhsa_wavefront_size32 1
		.amdhsa_uses_dynamic_stack 0
		.amdhsa_system_sgpr_private_segment_wavefront_offset 0
		.amdhsa_system_sgpr_workgroup_id_x 1
		.amdhsa_system_sgpr_workgroup_id_y 1
		.amdhsa_system_sgpr_workgroup_id_z 1
		.amdhsa_system_sgpr_workgroup_info 0
		.amdhsa_system_vgpr_workitem_id 0
		.amdhsa_next_free_vgpr 13
		.amdhsa_next_free_sgpr 41
		.amdhsa_reserve_vcc 1
		.amdhsa_reserve_flat_scratch 0
		.amdhsa_float_round_mode_32 0
		.amdhsa_float_round_mode_16_64 0
		.amdhsa_float_denorm_mode_32 3
		.amdhsa_float_denorm_mode_16_64 3
		.amdhsa_dx10_clamp 1
		.amdhsa_ieee_mode 1
		.amdhsa_fp16_overflow 0
		.amdhsa_workgroup_processor_mode 1
		.amdhsa_memory_ordered 1
		.amdhsa_forward_progress 1
		.amdhsa_shared_vgpr_count 0
		.amdhsa_exception_fp_ieee_invalid_op 0
		.amdhsa_exception_fp_denorm_src 0
		.amdhsa_exception_fp_ieee_div_zero 0
		.amdhsa_exception_fp_ieee_overflow 0
		.amdhsa_exception_fp_ieee_underflow 0
		.amdhsa_exception_fp_ieee_inexact 0
		.amdhsa_exception_int_div_zero 0
	.end_amdhsa_kernel
	.section	.text._ZL16dequantize_blockILi32ELi1EXadL_ZL15dequantize_q8_0PKvliR15HIP_vector_typeIfLj2EEEE14__hip_bfloat16EvS1_PT2_lllS2_IjLj3EElll,"axG",@progbits,_ZL16dequantize_blockILi32ELi1EXadL_ZL15dequantize_q8_0PKvliR15HIP_vector_typeIfLj2EEEE14__hip_bfloat16EvS1_PT2_lllS2_IjLj3EElll,comdat
.Lfunc_end52:
	.size	_ZL16dequantize_blockILi32ELi1EXadL_ZL15dequantize_q8_0PKvliR15HIP_vector_typeIfLj2EEEE14__hip_bfloat16EvS1_PT2_lllS2_IjLj3EElll, .Lfunc_end52-_ZL16dequantize_blockILi32ELi1EXadL_ZL15dequantize_q8_0PKvliR15HIP_vector_typeIfLj2EEEE14__hip_bfloat16EvS1_PT2_lllS2_IjLj3EElll
                                        ; -- End function
	.set _ZL16dequantize_blockILi32ELi1EXadL_ZL15dequantize_q8_0PKvliR15HIP_vector_typeIfLj2EEEE14__hip_bfloat16EvS1_PT2_lllS2_IjLj3EElll.num_vgpr, 13
	.set _ZL16dequantize_blockILi32ELi1EXadL_ZL15dequantize_q8_0PKvliR15HIP_vector_typeIfLj2EEEE14__hip_bfloat16EvS1_PT2_lllS2_IjLj3EElll.num_agpr, 0
	.set _ZL16dequantize_blockILi32ELi1EXadL_ZL15dequantize_q8_0PKvliR15HIP_vector_typeIfLj2EEEE14__hip_bfloat16EvS1_PT2_lllS2_IjLj3EElll.numbered_sgpr, 41
	.set _ZL16dequantize_blockILi32ELi1EXadL_ZL15dequantize_q8_0PKvliR15HIP_vector_typeIfLj2EEEE14__hip_bfloat16EvS1_PT2_lllS2_IjLj3EElll.num_named_barrier, 0
	.set _ZL16dequantize_blockILi32ELi1EXadL_ZL15dequantize_q8_0PKvliR15HIP_vector_typeIfLj2EEEE14__hip_bfloat16EvS1_PT2_lllS2_IjLj3EElll.private_seg_size, 0
	.set _ZL16dequantize_blockILi32ELi1EXadL_ZL15dequantize_q8_0PKvliR15HIP_vector_typeIfLj2EEEE14__hip_bfloat16EvS1_PT2_lllS2_IjLj3EElll.uses_vcc, 1
	.set _ZL16dequantize_blockILi32ELi1EXadL_ZL15dequantize_q8_0PKvliR15HIP_vector_typeIfLj2EEEE14__hip_bfloat16EvS1_PT2_lllS2_IjLj3EElll.uses_flat_scratch, 0
	.set _ZL16dequantize_blockILi32ELi1EXadL_ZL15dequantize_q8_0PKvliR15HIP_vector_typeIfLj2EEEE14__hip_bfloat16EvS1_PT2_lllS2_IjLj3EElll.has_dyn_sized_stack, 0
	.set _ZL16dequantize_blockILi32ELi1EXadL_ZL15dequantize_q8_0PKvliR15HIP_vector_typeIfLj2EEEE14__hip_bfloat16EvS1_PT2_lllS2_IjLj3EElll.has_recursion, 0
	.set _ZL16dequantize_blockILi32ELi1EXadL_ZL15dequantize_q8_0PKvliR15HIP_vector_typeIfLj2EEEE14__hip_bfloat16EvS1_PT2_lllS2_IjLj3EElll.has_indirect_call, 0
	.section	.AMDGPU.csdata,"",@progbits
; Kernel info:
; codeLenInByte = 868
; TotalNumSgprs: 43
; NumVgprs: 13
; ScratchSize: 0
; MemoryBound: 0
; FloatMode: 240
; IeeeMode: 1
; LDSByteSize: 0 bytes/workgroup (compile time only)
; SGPRBlocks: 0
; VGPRBlocks: 1
; NumSGPRsForWavesPerEU: 43
; NumVGPRsForWavesPerEU: 13
; Occupancy: 16
; WaveLimiterHint : 0
; COMPUTE_PGM_RSRC2:SCRATCH_EN: 0
; COMPUTE_PGM_RSRC2:USER_SGPR: 6
; COMPUTE_PGM_RSRC2:TRAP_HANDLER: 0
; COMPUTE_PGM_RSRC2:TGID_X_EN: 1
; COMPUTE_PGM_RSRC2:TGID_Y_EN: 1
; COMPUTE_PGM_RSRC2:TGID_Z_EN: 1
; COMPUTE_PGM_RSRC2:TIDIG_COMP_CNT: 0
	.section	.text._ZL13convert_unaryI6__half14__hip_bfloat16EvPKvPT0_lll15HIP_vector_typeIjLj3EElll,"axG",@progbits,_ZL13convert_unaryI6__half14__hip_bfloat16EvPKvPT0_lll15HIP_vector_typeIjLj3EElll,comdat
	.globl	_ZL13convert_unaryI6__half14__hip_bfloat16EvPKvPT0_lll15HIP_vector_typeIjLj3EElll ; -- Begin function _ZL13convert_unaryI6__half14__hip_bfloat16EvPKvPT0_lll15HIP_vector_typeIjLj3EElll
	.p2align	8
	.type	_ZL13convert_unaryI6__half14__hip_bfloat16EvPKvPT0_lll15HIP_vector_typeIjLj3EElll,@function
_ZL13convert_unaryI6__half14__hip_bfloat16EvPKvPT0_lll15HIP_vector_typeIjLj3EElll: ; @_ZL13convert_unaryI6__half14__hip_bfloat16EvPKvPT0_lll15HIP_vector_typeIjLj3EElll
; %bb.0:
	s_mov_b32 s10, s7
	s_clause 0x1
	s_load_dword s7, s[4:5], 0x5c
	s_load_dwordx4 s[0:3], s[4:5], 0x10
	v_mov_b32_e32 v1, 0
	s_add_u32 s24, s4, 0x50
	s_addc_u32 s25, s5, 0
	s_waitcnt lgkmcnt(0)
	s_and_b32 s7, s7, 0xffff
	v_mad_u64_u32 v[0:1], null, s7, s6, v[0:1]
	s_mov_b32 s6, exec_lo
	v_cmpx_gt_i64_e64 s[0:1], v[0:1]
	s_cbranch_execz .LBB53_16
; %bb.1:
	s_load_dwordx2 s[6:7], s[4:5], 0x20
	s_mov_b32 s11, 0
	v_cmp_le_i64_e64 s9, s[2:3], s[10:11]
	s_and_b32 vcc_lo, exec_lo, s9
	s_cbranch_vccnz .LBB53_16
; %bb.2:
	s_clause 0x2
	s_load_dwordx4 s[20:23], s[4:5], 0x0
	s_load_dwordx8 s[12:19], s[4:5], 0x28
	s_load_dwordx2 s[4:5], s[4:5], 0x48
	s_waitcnt lgkmcnt(0)
	s_load_dword s15, s[24:25], 0x4
	v_lshlrev_b64 v[0:1], 1, v[0:1]
	s_mov_b32 s9, s11
	s_mul_i32 s27, s3, s0
	v_cmp_gt_i64_e64 s62, s[6:7], s[8:9]
	s_mov_b32 s56, s0
	s_mov_b32 s57, s1
	;; [unrolled: 1-line block ×10, first 2 shown]
	s_mov_b64 s[28:29], s[10:11]
	v_add_co_u32 v2, vcc_lo, s22, v0
	v_add_co_ci_u32_e64 v3, null, s23, v1, vcc_lo
	s_mul_i32 s22, s2, s1
	s_mul_hi_u32 s23, s2, s0
	s_mov_b32 s33, s12
	s_add_i32 s26, s23, s22
	s_lshl_b64 s[22:23], s[0:1], 1
	s_add_i32 s1, s26, s27
	s_mul_i32 s0, s2, s0
	s_mov_b32 s42, s12
	s_mov_b32 s43, s13
	;; [unrolled: 1-line block ×10, first 2 shown]
	s_lshl_b64 s[26:27], s[0:1], 1
	s_sub_i32 s63, 0, s14
	s_branch .LBB53_4
.LBB53_3:                               ;   in Loop: Header=BB53_4 Depth=1
	s_waitcnt lgkmcnt(0)
	s_add_u32 s28, s28, s15
	s_addc_u32 s29, s29, 0
	v_cmp_ge_i64_e64 s0, s[28:29], s[2:3]
	s_and_b32 vcc_lo, exec_lo, s0
	s_cbranch_vccnz .LBB53_16
.LBB53_4:                               ; =>This Loop Header: Depth=1
                                        ;     Child Loop BB53_10 Depth 2
                                        ;     Child Loop BB53_14 Depth 2
	s_andn2_b32 vcc_lo, exec_lo, s62
	s_cbranch_vccnz .LBB53_3
; %bb.5:                                ;   in Loop: Header=BB53_4 Depth=1
	s_load_dword s10, s[24:25], 0x8
	s_waitcnt lgkmcnt(0)
	s_add_u32 s0, s8, s10
	s_addc_u32 s1, 0, 0
	v_cmp_gt_i64_e64 s30, s[6:7], s[0:1]
	v_cndmask_b32_e64 v4, 0, 1, s30
	s_and_b32 s34, s30, exec_lo
	s_cselect_b32 s34, s6, s0
	s_cselect_b32 s35, s7, s1
	v_readfirstlane_b32 s31, v4
	s_sub_u32 s31, s34, s31
	s_subb_u32 s34, s35, 0
	s_sub_u32 s31, s31, s0
	s_subb_u32 s1, s34, s1
	s_mov_b32 s0, s11
	s_cmp_lg_u64 s[0:1], 0
	s_cbranch_scc0 .LBB53_15
; %bb.6:                                ;   in Loop: Header=BB53_4 Depth=1
	v_cvt_f32_u32_e32 v4, s10
	s_sub_u32 s35, 0, s10
	s_subb_u32 s36, 0, 0
	v_fmac_f32_e64 v4, 0x4f800000, 0
	v_rcp_f32_e32 v4, v4
	v_mul_f32_e32 v4, 0x5f7ffffc, v4
	v_mul_f32_e32 v5, 0x2f800000, v4
	v_trunc_f32_e32 v5, v5
	v_fmac_f32_e32 v4, 0xcf800000, v5
	v_cvt_u32_f32_e32 v5, v5
	v_cvt_u32_f32_e32 v4, v4
	v_readfirstlane_b32 s0, v5
	v_readfirstlane_b32 s34, v4
	s_mul_i32 s37, s35, s0
	s_mul_hi_u32 s39, s35, s34
	s_mul_i32 s38, s36, s34
	s_add_i32 s37, s39, s37
	s_mul_i32 s40, s35, s34
	s_add_i32 s37, s37, s38
	s_mul_hi_u32 s39, s34, s40
	s_mul_i32 s64, s34, s37
	s_mul_hi_u32 s41, s0, s40
	s_mul_i32 s38, s0, s40
	s_mul_hi_u32 s40, s34, s37
	s_add_u32 s39, s39, s64
	s_addc_u32 s40, 0, s40
	s_mul_hi_u32 s65, s0, s37
	s_add_u32 s38, s39, s38
	s_mul_i32 s37, s0, s37
	s_addc_u32 s38, s40, s41
	s_addc_u32 s39, s65, 0
	s_add_u32 s37, s38, s37
	s_addc_u32 s38, 0, s39
	s_add_u32 s34, s34, s37
	s_cselect_b32 s37, -1, 0
	s_mul_hi_u32 s39, s35, s34
	s_cmp_lg_u32 s37, 0
	s_mul_i32 s37, s35, s34
	s_addc_u32 s0, s0, s38
	s_mul_i32 s36, s36, s34
	s_mul_i32 s35, s35, s0
	s_mul_hi_u32 s38, s34, s37
	s_add_i32 s35, s39, s35
	s_mul_hi_u32 s39, s0, s37
	s_add_i32 s35, s35, s36
	s_mul_i32 s36, s0, s37
	s_mul_i32 s41, s34, s35
	s_mul_hi_u32 s40, s34, s35
	s_add_u32 s38, s38, s41
	s_addc_u32 s40, 0, s40
	s_mul_hi_u32 s37, s0, s35
	s_add_u32 s36, s38, s36
	s_mul_i32 s35, s0, s35
	s_addc_u32 s36, s40, s39
	s_addc_u32 s37, s37, 0
	s_add_u32 s35, s36, s35
	s_addc_u32 s36, 0, s37
	s_add_u32 s34, s34, s35
	s_cselect_b32 s35, -1, 0
	s_mul_hi_u32 s37, s31, s34
	s_cmp_lg_u32 s35, 0
	s_mul_hi_u32 s35, s1, s34
	s_addc_u32 s0, s0, s36
	s_mul_i32 s34, s1, s34
	s_mul_i32 s38, s31, s0
	s_mul_hi_u32 s36, s31, s0
	s_add_u32 s37, s37, s38
	s_addc_u32 s36, 0, s36
	s_mul_hi_u32 s39, s1, s0
	s_add_u32 s34, s37, s34
	s_mul_i32 s0, s1, s0
	s_addc_u32 s34, s36, s35
	s_addc_u32 s35, s39, 0
	s_add_u32 s0, s34, s0
	s_addc_u32 s34, 0, s35
	s_add_u32 s35, s0, 1
	s_mul_hi_u32 s36, s10, s0
	s_addc_u32 s38, s34, 0
	s_mul_i32 s39, s10, s34
	s_mul_i32 s37, s10, s0
	s_add_u32 s40, s0, 2
	s_addc_u32 s41, s34, 0
	s_add_i32 s36, s36, s39
	s_sub_u32 s37, s31, s37
	s_cselect_b32 s39, -1, 0
	s_cmp_lg_u32 s39, 0
	s_subb_u32 s1, s1, s36
	s_sub_u32 s36, s37, s10
	s_cselect_b32 s39, -1, 0
	s_cmp_lg_u32 s39, 0
	s_subb_u32 s39, s1, 0
	s_cmp_ge_u32 s36, s10
	s_cselect_b32 s36, -1, 0
	s_cmp_eq_u32 s39, 0
	s_cselect_b32 s36, s36, -1
	s_cmp_lg_u32 s36, 0
	s_cselect_b32 s35, s40, s35
	s_cselect_b32 s36, s41, s38
	s_cmp_ge_u32 s37, s10
	s_cselect_b32 s37, -1, 0
	s_cmp_eq_u32 s1, 0
	s_cselect_b32 s1, s37, -1
	s_cmp_lg_u32 s1, 0
	s_cselect_b32 s1, s36, s34
	s_cselect_b32 s0, s35, s0
	s_cbranch_execnz .LBB53_8
.LBB53_7:                               ;   in Loop: Header=BB53_4 Depth=1
	v_cvt_f32_u32_e32 v4, s10
	s_sub_i32 s1, 0, s10
	v_rcp_iflag_f32_e32 v4, v4
	v_mul_f32_e32 v4, 0x4f7ffffe, v4
	v_cvt_u32_f32_e32 v4, v4
	v_readfirstlane_b32 s0, v4
	s_mul_i32 s1, s1, s0
	s_mul_hi_u32 s1, s0, s1
	s_add_i32 s0, s0, s1
	s_mul_hi_u32 s0, s31, s0
	s_mul_i32 s1, s0, s10
	s_sub_i32 s1, s31, s1
	s_add_i32 s31, s0, 1
	s_sub_i32 s34, s1, s10
	s_cmp_ge_u32 s1, s10
	s_cselect_b32 s0, s31, s0
	s_cselect_b32 s1, s34, s1
	s_add_i32 s31, s0, 1
	s_cmp_ge_u32 s1, s10
	s_mov_b32 s1, s11
	s_cselect_b32 s0, s31, s0
.LBB53_8:                               ;   in Loop: Header=BB53_4 Depth=1
	s_mul_i32 s31, s28, s17
	s_mul_hi_u32 s34, s28, s16
	s_mov_b64 s[38:39], s[8:9]
	s_add_i32 s31, s34, s31
	s_mul_i32 s34, s29, s16
	s_add_i32 s31, s31, s34
	s_and_b32 s30, s30, exec_lo
	s_cselect_b32 s30, 2, 1
	s_add_u32 s34, s30, s0
	s_addc_u32 s35, 0, s1
	s_mul_i32 s30, s28, s16
	v_cmp_lt_u64_e64 s1, s[34:35], 2
	s_mov_b32 s0, -1
	s_and_b32 vcc_lo, exec_lo, s1
	s_cbranch_vccnz .LBB53_12
; %bb.9:                                ;   in Loop: Header=BB53_4 Depth=1
	s_and_b32 s36, s34, -2
	s_add_u32 s65, s8, s10
	s_mov_b32 s37, s35
	s_addc_u32 s66, 0, 0
	s_lshl_b64 s[38:39], s[10:11], 1
	s_mov_b32 s1, s28
	s_mov_b32 s64, s29
	;; [unrolled: 1-line block ×6, first 2 shown]
	s_mov_b64 s[40:41], s[36:37]
.LBB53_10:                              ;   Parent Loop BB53_4 Depth=1
                                        ; =>  This Inner Loop Header: Depth=2
	s_mul_hi_u32 s0, s67, s33
	s_mul_hi_u32 s71, s65, s42
	s_mul_i32 s72, s65, s55
	s_mul_hi_u32 s73, s65, s54
	s_mul_i32 s75, s67, s53
	s_mul_hi_u32 s76, s67, s52
	s_add_i32 s71, s71, s65
	s_add_i32 s0, s0, s67
	s_mul_i32 s77, s68, s52
	s_add_i32 s72, s73, s72
	s_add_i32 s73, s76, s75
	s_lshr_b32 s0, s0, s43
	s_lshr_b32 s71, s71, s44
	s_mul_i32 s74, s66, s54
	s_add_i32 s83, s73, s77
	s_mul_i32 s73, s71, s45
	s_mul_i32 s75, s0, s14
	s_add_i32 s82, s72, s74
	s_mul_i32 s76, s47, s71
	s_mul_hi_u32 s77, s46, s71
	s_mul_i32 s72, s46, s71
	s_mul_i32 s71, s5, s0
	s_mul_hi_u32 s78, s4, s0
	s_mul_i32 s74, s4, s0
	s_sub_i32 s0, s67, s75
	s_sub_i32 s79, s65, s73
	s_add_i32 s73, s77, s76
	s_add_i32 s75, s78, s71
	s_mul_i32 s71, s51, s79
	s_mul_hi_u32 s77, s50, s79
	s_mul_i32 s76, s50, s79
	s_mul_i32 s79, s49, s0
	s_mul_hi_u32 s84, s48, s0
	s_mul_i32 s81, s67, s52
	s_add_i32 s77, s77, s71
	s_add_i32 s79, s84, s79
	s_mul_i32 s80, s65, s54
	s_mul_i32 s78, s48, s0
	s_add_u32 s0, s81, s28
	s_addc_u32 s71, s83, s29
	s_add_u32 s84, s80, s1
	s_mul_i32 s80, s0, s57
	s_mul_hi_u32 s81, s0, s56
	s_addc_u32 s82, s82, s64
	s_mul_i32 s83, s84, s59
	s_mul_hi_u32 s85, s84, s58
	s_mul_i32 s71, s71, s56
	s_add_i32 s80, s81, s80
	s_mul_i32 s82, s82, s58
	s_add_i32 s83, s85, s83
	s_lshl_b64 s[74:75], s[74:75], 1
	s_add_i32 s81, s80, s71
	s_add_i32 s83, s83, s82
	s_add_u32 s71, s20, s74
	s_addc_u32 s74, s21, s75
	s_lshl_b64 s[72:73], s[72:73], 1
	s_mul_i32 s82, s84, s58
	s_add_u32 s75, s20, s72
	s_addc_u32 s80, s21, s73
	s_lshl_b64 s[72:73], s[78:79], 1
	s_add_u32 s71, s71, s72
	s_addc_u32 s74, s74, s73
	s_lshl_b64 s[72:73], s[76:77], 1
	;; [unrolled: 3-line block ×3, first 2 shown]
	s_mul_i32 s80, s0, s56
	s_add_u32 s71, s71, s72
	s_addc_u32 s74, s74, s73
	s_add_u32 s72, s75, s72
	v_add_co_u32 v4, vcc_lo, s71, v0
	s_addc_u32 s71, s76, s73
	v_add_co_ci_u32_e64 v5, null, s74, v1, vcc_lo
	v_add_co_u32 v6, vcc_lo, s72, v0
	v_add_co_ci_u32_e64 v7, null, s71, v1, vcc_lo
	s_clause 0x1
	global_load_ushort v8, v[4:5], off
	global_load_ushort v7, v[6:7], off
	s_lshl_b64 s[72:73], s[80:81], 1
	s_lshl_b64 s[74:75], s[82:83], 1
	v_add_co_u32 v4, vcc_lo, v2, s72
	v_add_co_ci_u32_e64 v5, null, s73, v3, vcc_lo
	v_add_co_u32 v6, vcc_lo, v2, s74
	s_add_u32 s65, s65, s69
	s_addc_u32 s66, s66, s70
	s_add_u32 s67, s67, s38
	s_addc_u32 s68, s68, s39
	s_add_u32 s40, s40, -2
	s_addc_u32 s41, s41, -1
	s_cmp_lg_u64 s[40:41], 0
	s_waitcnt vmcnt(1)
	v_cvt_f32_f16_e32 v8, v8
	s_waitcnt vmcnt(0)
	v_cvt_f32_f16_e32 v9, v7
	v_add_co_ci_u32_e64 v7, null, s75, v3, vcc_lo
	v_bfe_u32 v10, v8, 16, 1
	v_bfe_u32 v11, v9, 16, 1
	v_or_b32_e32 v12, 0x400000, v8
	v_cmp_u_f32_e32 vcc_lo, v8, v8
	v_or_b32_e32 v13, 0x400000, v9
	v_add3_u32 v10, v10, v8, 0x7fff
	v_add3_u32 v11, v11, v9, 0x7fff
	v_cmp_u_f32_e64 s0, v9, v9
	v_cndmask_b32_e32 v8, v10, v12, vcc_lo
	v_cndmask_b32_e64 v9, v11, v13, s0
	global_store_short_d16_hi v[4:5], v8, off
	global_store_short_d16_hi v[6:7], v9, off
	s_cbranch_scc1 .LBB53_10
; %bb.11:                               ;   in Loop: Header=BB53_4 Depth=1
	s_mul_i32 s0, s37, s10
	s_mul_hi_u32 s1, s36, s10
	s_mul_i32 s38, s36, s10
	s_add_i32 s1, s1, s0
	s_add_u32 s38, s38, s8
	s_addc_u32 s39, s1, 0
	s_cmp_lg_u64 s[34:35], s[36:37]
	s_cselect_b32 s0, -1, 0
.LBB53_12:                              ;   in Loop: Header=BB53_4 Depth=1
	s_and_b32 vcc_lo, exec_lo, s0
	s_cbranch_vccz .LBB53_3
; %bb.13:                               ;   in Loop: Header=BB53_4 Depth=1
	s_mul_i32 s0, s2, s39
	s_mul_hi_u32 s1, s2, s38
	s_mul_i32 s34, s2, s38
	s_add_i32 s0, s1, s0
	s_mul_i32 s1, s3, s38
	s_add_i32 s0, s0, s1
	s_add_u32 s1, s28, s34
	s_addc_u32 s0, s29, s0
	v_mad_u64_u32 v[4:5], null, s22, s1, v[2:3]
	s_mul_i32 s1, s23, s1
	s_mul_i32 s0, s22, s0
	;; [unrolled: 1-line block ×3, first 2 shown]
	v_add3_u32 v5, s0, s1, v5
	s_mul_hi_u32 s0, s26, s10
	s_add_i32 s1, s0, s34
	s_mul_i32 s34, s26, s10
.LBB53_14:                              ;   Parent Loop BB53_4 Depth=1
                                        ; =>  This Inner Loop Header: Depth=2
	s_mul_hi_u32 s0, s12, s38
	s_add_i32 s0, s38, s0
	s_lshr_b32 s0, s0, s13
	s_mul_i32 s35, s63, s0
	s_mul_i32 s37, s5, s0
	s_mul_hi_u32 s40, s4, s0
	s_mul_i32 s36, s4, s0
	s_add_i32 s0, s38, s35
	s_add_i32 s37, s40, s37
	s_mul_i32 s35, s19, s0
	s_mul_hi_u32 s41, s18, s0
	s_lshl_b64 s[36:37], s[36:37], 1
	s_mul_i32 s40, s18, s0
	s_add_i32 s41, s41, s35
	s_add_u32 s0, s20, s36
	s_addc_u32 s35, s21, s37
	s_lshl_b64 s[36:37], s[40:41], 1
	s_add_u32 s0, s0, s36
	s_addc_u32 s35, s35, s37
	s_lshl_b64 s[36:37], s[30:31], 1
	s_add_u32 s0, s0, s36
	s_addc_u32 s35, s35, s37
	v_add_co_u32 v6, vcc_lo, s0, v0
	v_add_co_ci_u32_e64 v7, null, s35, v1, vcc_lo
	s_add_u32 s38, s38, s10
	s_addc_u32 s39, s39, 0
	global_load_ushort v6, v[6:7], off
	v_cmp_ge_i64_e64 s0, s[38:39], s[6:7]
	s_and_b32 vcc_lo, exec_lo, s0
	s_waitcnt vmcnt(0)
	v_cvt_f32_f16_e32 v6, v6
	v_bfe_u32 v7, v6, 16, 1
	v_or_b32_e32 v8, 0x400000, v6
	v_cmp_u_f32_e64 s0, v6, v6
	v_add3_u32 v7, v7, v6, 0x7fff
	v_cndmask_b32_e64 v6, v7, v8, s0
	global_store_short_d16_hi v[4:5], v6, off
	v_add_co_u32 v4, s0, v4, s34
	v_add_co_ci_u32_e64 v5, null, s1, v5, s0
	s_cbranch_vccz .LBB53_14
	s_branch .LBB53_3
.LBB53_15:                              ;   in Loop: Header=BB53_4 Depth=1
                                        ; implicit-def: $sgpr0_sgpr1
	s_branch .LBB53_7
.LBB53_16:
	s_endpgm
	.section	.rodata,"a",@progbits
	.p2align	6, 0x0
	.amdhsa_kernel _ZL13convert_unaryI6__half14__hip_bfloat16EvPKvPT0_lll15HIP_vector_typeIjLj3EElll
		.amdhsa_group_segment_fixed_size 0
		.amdhsa_private_segment_fixed_size 0
		.amdhsa_kernarg_size 336
		.amdhsa_user_sgpr_count 6
		.amdhsa_user_sgpr_private_segment_buffer 1
		.amdhsa_user_sgpr_dispatch_ptr 0
		.amdhsa_user_sgpr_queue_ptr 0
		.amdhsa_user_sgpr_kernarg_segment_ptr 1
		.amdhsa_user_sgpr_dispatch_id 0
		.amdhsa_user_sgpr_flat_scratch_init 0
		.amdhsa_user_sgpr_private_segment_size 0
		.amdhsa_wavefront_size32 1
		.amdhsa_uses_dynamic_stack 0
		.amdhsa_system_sgpr_private_segment_wavefront_offset 0
		.amdhsa_system_sgpr_workgroup_id_x 1
		.amdhsa_system_sgpr_workgroup_id_y 1
		.amdhsa_system_sgpr_workgroup_id_z 1
		.amdhsa_system_sgpr_workgroup_info 0
		.amdhsa_system_vgpr_workitem_id 0
		.amdhsa_next_free_vgpr 14
		.amdhsa_next_free_sgpr 86
		.amdhsa_reserve_vcc 1
		.amdhsa_reserve_flat_scratch 0
		.amdhsa_float_round_mode_32 0
		.amdhsa_float_round_mode_16_64 0
		.amdhsa_float_denorm_mode_32 3
		.amdhsa_float_denorm_mode_16_64 3
		.amdhsa_dx10_clamp 1
		.amdhsa_ieee_mode 1
		.amdhsa_fp16_overflow 0
		.amdhsa_workgroup_processor_mode 1
		.amdhsa_memory_ordered 1
		.amdhsa_forward_progress 1
		.amdhsa_shared_vgpr_count 0
		.amdhsa_exception_fp_ieee_invalid_op 0
		.amdhsa_exception_fp_denorm_src 0
		.amdhsa_exception_fp_ieee_div_zero 0
		.amdhsa_exception_fp_ieee_overflow 0
		.amdhsa_exception_fp_ieee_underflow 0
		.amdhsa_exception_fp_ieee_inexact 0
		.amdhsa_exception_int_div_zero 0
	.end_amdhsa_kernel
	.section	.text._ZL13convert_unaryI6__half14__hip_bfloat16EvPKvPT0_lll15HIP_vector_typeIjLj3EElll,"axG",@progbits,_ZL13convert_unaryI6__half14__hip_bfloat16EvPKvPT0_lll15HIP_vector_typeIjLj3EElll,comdat
.Lfunc_end53:
	.size	_ZL13convert_unaryI6__half14__hip_bfloat16EvPKvPT0_lll15HIP_vector_typeIjLj3EElll, .Lfunc_end53-_ZL13convert_unaryI6__half14__hip_bfloat16EvPKvPT0_lll15HIP_vector_typeIjLj3EElll
                                        ; -- End function
	.set _ZL13convert_unaryI6__half14__hip_bfloat16EvPKvPT0_lll15HIP_vector_typeIjLj3EElll.num_vgpr, 14
	.set _ZL13convert_unaryI6__half14__hip_bfloat16EvPKvPT0_lll15HIP_vector_typeIjLj3EElll.num_agpr, 0
	.set _ZL13convert_unaryI6__half14__hip_bfloat16EvPKvPT0_lll15HIP_vector_typeIjLj3EElll.numbered_sgpr, 86
	.set _ZL13convert_unaryI6__half14__hip_bfloat16EvPKvPT0_lll15HIP_vector_typeIjLj3EElll.num_named_barrier, 0
	.set _ZL13convert_unaryI6__half14__hip_bfloat16EvPKvPT0_lll15HIP_vector_typeIjLj3EElll.private_seg_size, 0
	.set _ZL13convert_unaryI6__half14__hip_bfloat16EvPKvPT0_lll15HIP_vector_typeIjLj3EElll.uses_vcc, 1
	.set _ZL13convert_unaryI6__half14__hip_bfloat16EvPKvPT0_lll15HIP_vector_typeIjLj3EElll.uses_flat_scratch, 0
	.set _ZL13convert_unaryI6__half14__hip_bfloat16EvPKvPT0_lll15HIP_vector_typeIjLj3EElll.has_dyn_sized_stack, 0
	.set _ZL13convert_unaryI6__half14__hip_bfloat16EvPKvPT0_lll15HIP_vector_typeIjLj3EElll.has_recursion, 0
	.set _ZL13convert_unaryI6__half14__hip_bfloat16EvPKvPT0_lll15HIP_vector_typeIjLj3EElll.has_indirect_call, 0
	.section	.AMDGPU.csdata,"",@progbits
; Kernel info:
; codeLenInByte = 1924
; TotalNumSgprs: 88
; NumVgprs: 14
; ScratchSize: 0
; MemoryBound: 0
; FloatMode: 240
; IeeeMode: 1
; LDSByteSize: 0 bytes/workgroup (compile time only)
; SGPRBlocks: 0
; VGPRBlocks: 1
; NumSGPRsForWavesPerEU: 88
; NumVGPRsForWavesPerEU: 14
; Occupancy: 16
; WaveLimiterHint : 0
; COMPUTE_PGM_RSRC2:SCRATCH_EN: 0
; COMPUTE_PGM_RSRC2:USER_SGPR: 6
; COMPUTE_PGM_RSRC2:TRAP_HANDLER: 0
; COMPUTE_PGM_RSRC2:TGID_X_EN: 1
; COMPUTE_PGM_RSRC2:TGID_Y_EN: 1
; COMPUTE_PGM_RSRC2:TGID_Z_EN: 1
; COMPUTE_PGM_RSRC2:TIDIG_COMP_CNT: 0
	.section	.text._ZL13convert_unaryI6__halffEvPKvPT0_lll15HIP_vector_typeIjLj3EElll,"axG",@progbits,_ZL13convert_unaryI6__halffEvPKvPT0_lll15HIP_vector_typeIjLj3EElll,comdat
	.globl	_ZL13convert_unaryI6__halffEvPKvPT0_lll15HIP_vector_typeIjLj3EElll ; -- Begin function _ZL13convert_unaryI6__halffEvPKvPT0_lll15HIP_vector_typeIjLj3EElll
	.p2align	8
	.type	_ZL13convert_unaryI6__halffEvPKvPT0_lll15HIP_vector_typeIjLj3EElll,@function
_ZL13convert_unaryI6__halffEvPKvPT0_lll15HIP_vector_typeIjLj3EElll: ; @_ZL13convert_unaryI6__halffEvPKvPT0_lll15HIP_vector_typeIjLj3EElll
; %bb.0:
	s_mov_b32 s10, s7
	s_clause 0x1
	s_load_dword s7, s[4:5], 0x5c
	s_load_dwordx4 s[0:3], s[4:5], 0x10
	v_mov_b32_e32 v1, 0
	s_add_u32 s24, s4, 0x50
	s_addc_u32 s25, s5, 0
	s_waitcnt lgkmcnt(0)
	s_and_b32 s7, s7, 0xffff
	v_mad_u64_u32 v[2:3], null, s7, s6, v[0:1]
	s_mov_b32 s6, exec_lo
	v_cmpx_gt_i64_e64 s[0:1], v[2:3]
	s_cbranch_execz .LBB54_7
; %bb.1:
	s_load_dwordx2 s[6:7], s[4:5], 0x20
	s_mov_b32 s11, 0
	v_cmp_le_i64_e64 s9, s[2:3], s[10:11]
	s_and_b32 vcc_lo, exec_lo, s9
	s_cbranch_vccnz .LBB54_7
; %bb.2:
	s_clause 0x2
	s_load_dwordx4 s[20:23], s[4:5], 0x0
	s_load_dwordx8 s[12:19], s[4:5], 0x28
	s_load_dwordx2 s[4:5], s[4:5], 0x48
	s_load_dword s30, s[24:25], 0x4
	s_mul_i32 s9, s3, s8
	s_waitcnt lgkmcnt(0)
	s_mul_hi_u32 s15, s2, s8
	s_mul_i32 s26, s2, s8
	s_add_i32 s15, s15, s9
	s_add_u32 s9, s26, s10
	s_addc_u32 s15, s15, 0
	s_mul_hi_u32 s26, s0, s9
	s_mul_i32 s15, s0, s15
	s_mul_i32 s27, s1, s9
	s_add_i32 s15, s26, s15
	s_mul_i32 s26, s0, s9
	s_add_i32 s27, s15, s27
	v_lshlrev_b64 v[0:1], 2, v[2:3]
	s_lshl_b64 s[26:27], s[26:27], 2
	s_mov_b32 s9, s11
	v_lshlrev_b64 v[2:3], 1, v[2:3]
	s_add_u32 s15, s22, s26
	s_addc_u32 s22, s23, s27
	v_add_co_u32 v0, vcc_lo, s15, v0
	v_add_co_ci_u32_e64 v1, null, s22, v1, vcc_lo
	s_mul_i32 s15, s1, s30
	s_mul_hi_u32 s22, s0, s30
	s_mul_i32 s1, s2, s1
	s_mul_hi_u32 s26, s2, s0
	s_add_i32 s23, s22, s15
	s_add_i32 s1, s26, s1
	s_mul_i32 s15, s3, s0
	s_mul_i32 s22, s0, s30
	s_add_i32 s27, s1, s15
	v_cmp_gt_i64_e64 s1, s[6:7], s[8:9]
	s_mul_i32 s26, s2, s0
	s_lshl_b64 s[22:23], s[22:23], 2
	s_lshl_b64 s[26:27], s[26:27], 2
	s_sub_i32 s31, 0, s14
	s_branch .LBB54_4
.LBB54_3:                               ;   in Loop: Header=BB54_4 Depth=1
	s_inst_prefetch 0x2
	s_add_u32 s10, s10, s30
	s_addc_u32 s11, s11, 0
	v_add_co_u32 v0, vcc_lo, v0, s22
	v_cmp_ge_i64_e64 s0, s[10:11], s[2:3]
	v_add_co_ci_u32_e64 v1, null, s23, v1, vcc_lo
	s_and_b32 vcc_lo, exec_lo, s0
	s_cbranch_vccnz .LBB54_7
.LBB54_4:                               ; =>This Loop Header: Depth=1
                                        ;     Child Loop BB54_6 Depth 2
	s_andn2_b32 vcc_lo, exec_lo, s1
	s_cbranch_vccnz .LBB54_3
; %bb.5:                                ;   in Loop: Header=BB54_4 Depth=1
	s_load_dword s33, s[24:25], 0x8
	s_mul_i32 s0, s10, s17
	s_mul_hi_u32 s14, s10, s16
	s_mul_i32 s15, s11, s16
	s_add_i32 s0, s14, s0
	v_mov_b32_e32 v5, v1
	v_mov_b32_e32 v4, v0
	s_mul_i32 s14, s10, s16
	s_add_i32 s15, s0, s15
	s_lshl_b64 s[14:15], s[14:15], 1
	s_waitcnt lgkmcnt(0)
	s_mul_i32 s0, s27, s33
	s_mul_hi_u32 s28, s26, s33
	s_mul_i32 s34, s26, s33
	s_add_i32 s35, s28, s0
	s_mov_b64 s[28:29], s[8:9]
	s_inst_prefetch 0x1
	.p2align	6
.LBB54_6:                               ;   Parent Loop BB54_4 Depth=1
                                        ; =>  This Inner Loop Header: Depth=2
	s_mul_hi_u32 s0, s12, s28
	s_add_i32 s0, s28, s0
	s_lshr_b32 s0, s0, s13
	s_mul_i32 s37, s31, s0
	s_mul_i32 s38, s5, s0
	s_mul_hi_u32 s39, s4, s0
	s_mul_i32 s36, s4, s0
	s_add_i32 s0, s28, s37
	s_add_i32 s37, s39, s38
	s_mul_i32 s39, s19, s0
	s_mul_hi_u32 s40, s18, s0
	s_lshl_b64 s[36:37], s[36:37], 1
	s_mul_i32 s38, s18, s0
	s_add_i32 s39, s40, s39
	s_add_u32 s0, s20, s36
	s_addc_u32 s40, s21, s37
	s_lshl_b64 s[36:37], s[38:39], 1
	s_add_u32 s0, s0, s36
	s_addc_u32 s36, s40, s37
	s_add_u32 s0, s0, s14
	s_addc_u32 s36, s36, s15
	v_add_co_u32 v6, vcc_lo, s0, v2
	v_add_co_ci_u32_e64 v7, null, s36, v3, vcc_lo
	s_add_u32 s28, s28, s33
	s_addc_u32 s29, s29, 0
	global_load_ushort v6, v[6:7], off
	v_cmp_ge_i64_e64 s0, s[28:29], s[6:7]
	s_and_b32 vcc_lo, exec_lo, s0
	s_waitcnt vmcnt(0)
	v_cvt_f32_f16_e32 v6, v6
	global_store_dword v[4:5], v6, off
	v_add_co_u32 v4, s0, v4, s34
	v_add_co_ci_u32_e64 v5, null, s35, v5, s0
	s_cbranch_vccz .LBB54_6
	s_branch .LBB54_3
.LBB54_7:
	s_endpgm
	.section	.rodata,"a",@progbits
	.p2align	6, 0x0
	.amdhsa_kernel _ZL13convert_unaryI6__halffEvPKvPT0_lll15HIP_vector_typeIjLj3EElll
		.amdhsa_group_segment_fixed_size 0
		.amdhsa_private_segment_fixed_size 0
		.amdhsa_kernarg_size 336
		.amdhsa_user_sgpr_count 6
		.amdhsa_user_sgpr_private_segment_buffer 1
		.amdhsa_user_sgpr_dispatch_ptr 0
		.amdhsa_user_sgpr_queue_ptr 0
		.amdhsa_user_sgpr_kernarg_segment_ptr 1
		.amdhsa_user_sgpr_dispatch_id 0
		.amdhsa_user_sgpr_flat_scratch_init 0
		.amdhsa_user_sgpr_private_segment_size 0
		.amdhsa_wavefront_size32 1
		.amdhsa_uses_dynamic_stack 0
		.amdhsa_system_sgpr_private_segment_wavefront_offset 0
		.amdhsa_system_sgpr_workgroup_id_x 1
		.amdhsa_system_sgpr_workgroup_id_y 1
		.amdhsa_system_sgpr_workgroup_id_z 1
		.amdhsa_system_sgpr_workgroup_info 0
		.amdhsa_system_vgpr_workitem_id 0
		.amdhsa_next_free_vgpr 8
		.amdhsa_next_free_sgpr 41
		.amdhsa_reserve_vcc 1
		.amdhsa_reserve_flat_scratch 0
		.amdhsa_float_round_mode_32 0
		.amdhsa_float_round_mode_16_64 0
		.amdhsa_float_denorm_mode_32 3
		.amdhsa_float_denorm_mode_16_64 3
		.amdhsa_dx10_clamp 1
		.amdhsa_ieee_mode 1
		.amdhsa_fp16_overflow 0
		.amdhsa_workgroup_processor_mode 1
		.amdhsa_memory_ordered 1
		.amdhsa_forward_progress 1
		.amdhsa_shared_vgpr_count 0
		.amdhsa_exception_fp_ieee_invalid_op 0
		.amdhsa_exception_fp_denorm_src 0
		.amdhsa_exception_fp_ieee_div_zero 0
		.amdhsa_exception_fp_ieee_overflow 0
		.amdhsa_exception_fp_ieee_underflow 0
		.amdhsa_exception_fp_ieee_inexact 0
		.amdhsa_exception_int_div_zero 0
	.end_amdhsa_kernel
	.section	.text._ZL13convert_unaryI6__halffEvPKvPT0_lll15HIP_vector_typeIjLj3EElll,"axG",@progbits,_ZL13convert_unaryI6__halffEvPKvPT0_lll15HIP_vector_typeIjLj3EElll,comdat
.Lfunc_end54:
	.size	_ZL13convert_unaryI6__halffEvPKvPT0_lll15HIP_vector_typeIjLj3EElll, .Lfunc_end54-_ZL13convert_unaryI6__halffEvPKvPT0_lll15HIP_vector_typeIjLj3EElll
                                        ; -- End function
	.set _ZL13convert_unaryI6__halffEvPKvPT0_lll15HIP_vector_typeIjLj3EElll.num_vgpr, 8
	.set _ZL13convert_unaryI6__halffEvPKvPT0_lll15HIP_vector_typeIjLj3EElll.num_agpr, 0
	.set _ZL13convert_unaryI6__halffEvPKvPT0_lll15HIP_vector_typeIjLj3EElll.numbered_sgpr, 41
	.set _ZL13convert_unaryI6__halffEvPKvPT0_lll15HIP_vector_typeIjLj3EElll.num_named_barrier, 0
	.set _ZL13convert_unaryI6__halffEvPKvPT0_lll15HIP_vector_typeIjLj3EElll.private_seg_size, 0
	.set _ZL13convert_unaryI6__halffEvPKvPT0_lll15HIP_vector_typeIjLj3EElll.uses_vcc, 1
	.set _ZL13convert_unaryI6__halffEvPKvPT0_lll15HIP_vector_typeIjLj3EElll.uses_flat_scratch, 0
	.set _ZL13convert_unaryI6__halffEvPKvPT0_lll15HIP_vector_typeIjLj3EElll.has_dyn_sized_stack, 0
	.set _ZL13convert_unaryI6__halffEvPKvPT0_lll15HIP_vector_typeIjLj3EElll.has_recursion, 0
	.set _ZL13convert_unaryI6__halffEvPKvPT0_lll15HIP_vector_typeIjLj3EElll.has_indirect_call, 0
	.section	.AMDGPU.csdata,"",@progbits
; Kernel info:
; codeLenInByte = 620
; TotalNumSgprs: 43
; NumVgprs: 8
; ScratchSize: 0
; MemoryBound: 0
; FloatMode: 240
; IeeeMode: 1
; LDSByteSize: 0 bytes/workgroup (compile time only)
; SGPRBlocks: 0
; VGPRBlocks: 0
; NumSGPRsForWavesPerEU: 43
; NumVGPRsForWavesPerEU: 8
; Occupancy: 16
; WaveLimiterHint : 0
; COMPUTE_PGM_RSRC2:SCRATCH_EN: 0
; COMPUTE_PGM_RSRC2:USER_SGPR: 6
; COMPUTE_PGM_RSRC2:TRAP_HANDLER: 0
; COMPUTE_PGM_RSRC2:TGID_X_EN: 1
; COMPUTE_PGM_RSRC2:TGID_Y_EN: 1
; COMPUTE_PGM_RSRC2:TGID_Z_EN: 1
; COMPUTE_PGM_RSRC2:TIDIG_COMP_CNT: 0
	.section	.text._ZL16dequantize_blockILi128ELi1EXadL_ZL15dequantize_q1_0PKvliR15HIP_vector_typeIfLj2EEEEfEvS1_PT2_lllS2_IjLj3EElll,"axG",@progbits,_ZL16dequantize_blockILi128ELi1EXadL_ZL15dequantize_q1_0PKvliR15HIP_vector_typeIfLj2EEEEfEvS1_PT2_lllS2_IjLj3EElll,comdat
	.globl	_ZL16dequantize_blockILi128ELi1EXadL_ZL15dequantize_q1_0PKvliR15HIP_vector_typeIfLj2EEEEfEvS1_PT2_lllS2_IjLj3EElll ; -- Begin function _ZL16dequantize_blockILi128ELi1EXadL_ZL15dequantize_q1_0PKvliR15HIP_vector_typeIfLj2EEEEfEvS1_PT2_lllS2_IjLj3EElll
	.p2align	8
	.type	_ZL16dequantize_blockILi128ELi1EXadL_ZL15dequantize_q1_0PKvliR15HIP_vector_typeIfLj2EEEEfEvS1_PT2_lllS2_IjLj3EElll,@function
_ZL16dequantize_blockILi128ELi1EXadL_ZL15dequantize_q1_0PKvliR15HIP_vector_typeIfLj2EEEEfEvS1_PT2_lllS2_IjLj3EElll: ; @_ZL16dequantize_blockILi128ELi1EXadL_ZL15dequantize_q1_0PKvliR15HIP_vector_typeIfLj2EEEEfEvS1_PT2_lllS2_IjLj3EElll
; %bb.0:
	s_mov_b32 s10, s7
	s_clause 0x1
	s_load_dword s7, s[4:5], 0x5c
	s_load_dwordx4 s[0:3], s[4:5], 0x10
	v_mov_b32_e32 v1, 0
	s_add_u32 s24, s4, 0x50
	s_addc_u32 s25, s5, 0
	s_waitcnt lgkmcnt(0)
	s_and_b32 s9, s7, 0xffff
	v_mad_u64_u32 v[1:2], null, s9, s6, v[0:1]
	s_mov_b32 s9, exec_lo
	v_lshlrev_b64 v[3:4], 1, v[1:2]
	v_cmpx_gt_i64_e64 s[0:1], v[3:4]
	s_cbranch_execz .LBB55_7
; %bb.1:
	s_load_dwordx2 s[26:27], s[4:5], 0x20
	s_mov_b32 s11, 0
	v_cmp_le_i64_e64 s9, s[2:3], s[10:11]
	s_and_b32 vcc_lo, exec_lo, s9
	s_cbranch_vccnz .LBB55_7
; %bb.2:
	s_clause 0x2
	s_load_dwordx4 s[20:23], s[4:5], 0x0
	s_load_dwordx8 s[12:19], s[4:5], 0x28
	s_load_dwordx2 s[4:5], s[4:5], 0x48
	s_mul_i32 s9, s3, s8
	s_waitcnt lgkmcnt(0)
	s_mul_hi_u32 s15, s2, s8
	s_mul_i32 s28, s2, s8
	s_add_i32 s15, s15, s9
	s_add_u32 s28, s28, s10
	s_addc_u32 s9, s15, 0
	v_lshrrev_b64 v[1:2], 6, v[1:2]
	s_mul_i32 s9, s0, s9
	s_mul_i32 s6, s6, s7
	s_mul_hi_u32 s7, s0, s28
	v_add_nc_u16 v0, s6, v0
	s_add_i32 s6, s7, s9
	s_mul_i32 s7, s1, s28
	v_lshlrev_b64 v[4:5], 9, v[1:2]
	s_add_i32 s7, s6, s7
	s_mul_i32 s6, s0, s28
	s_load_dword s28, s[24:25], 0x4
	v_and_b32_e32 v0, 63, v0
	s_lshl_b64 s[6:7], s[6:7], 2
	v_and_b32_e32 v7, 6, v3
	v_add_co_u32 v4, vcc_lo, s6, v4
	v_lshlrev_b32_e32 v6, 3, v0
	v_add_co_ci_u32_e64 v5, null, s7, v5, vcc_lo
	v_bfe_u32 v0, v3, 3, 4
	s_mul_hi_u32 s15, s2, s0
	v_add_co_u32 v4, vcc_lo, v4, v6
	v_add_co_ci_u32_e64 v5, null, 0, v5, vcc_lo
	s_mov_b32 s9, s11
	v_add_co_u32 v3, vcc_lo, s22, v4
	v_add_co_ci_u32_e64 v4, null, s23, v5, vcc_lo
	s_waitcnt lgkmcnt(0)
	s_mul_i32 s6, s1, s28
	s_mul_i32 s1, s2, s1
	v_add_co_u32 v3, vcc_lo, v3, 4
	s_add_i32 s1, s15, s1
	s_mul_i32 s15, s3, s0
	s_mul_hi_u32 s7, s0, s28
	s_add_i32 s23, s1, s15
	v_cmp_gt_i64_e64 s1, s[26:27], s[8:9]
	v_or_b32_e32 v8, 1, v7
	v_add_co_ci_u32_e64 v4, null, 0, v4, vcc_lo
	s_add_i32 s7, s7, s6
	s_mul_i32 s6, s0, s28
	s_mul_i32 s22, s2, s0
	s_lshl_b64 s[6:7], s[6:7], 2
	s_lshl_b64 s[22:23], s[22:23], 2
	s_sub_i32 s29, 0, s14
	s_branch .LBB55_4
.LBB55_3:                               ;   in Loop: Header=BB55_4 Depth=1
	s_add_u32 s10, s10, s28
	s_addc_u32 s11, s11, 0
	v_add_co_u32 v3, vcc_lo, v3, s6
	v_cmp_ge_i64_e64 s0, s[10:11], s[2:3]
	v_add_co_ci_u32_e64 v4, null, s7, v4, vcc_lo
	s_and_b32 vcc_lo, exec_lo, s0
	s_cbranch_vccnz .LBB55_7
.LBB55_4:                               ; =>This Loop Header: Depth=1
                                        ;     Child Loop BB55_6 Depth 2
	s_andn2_b32 vcc_lo, exec_lo, s1
	s_cbranch_vccnz .LBB55_3
; %bb.5:                                ;   in Loop: Header=BB55_4 Depth=1
	s_load_dword s30, s[24:25], 0x8
	s_mul_i32 s0, s10, s17
	s_mul_hi_u32 s14, s10, s16
	s_mul_i32 s15, s11, s16
	s_add_i32 s0, s14, s0
	s_mul_i32 s31, s10, s16
	s_add_i32 s0, s0, s15
	v_mov_b32_e32 v6, v4
	s_mul_hi_u32 s33, s31, 18
	s_mul_i32 s0, s0, 18
	v_mov_b32_e32 v5, v3
	s_add_i32 s33, s33, s0
	s_mul_i32 s31, s31, 18
	s_waitcnt lgkmcnt(0)
	s_mul_i32 s0, s23, s30
	s_mul_hi_u32 s14, s22, s30
	s_mul_i32 s34, s22, s30
	s_add_i32 s35, s14, s0
	s_mov_b64 s[14:15], s[8:9]
.LBB55_6:                               ;   Parent Loop BB55_4 Depth=1
                                        ; =>  This Inner Loop Header: Depth=2
	s_mul_hi_u32 s0, s12, s14
	s_add_i32 s0, s14, s0
	s_lshr_b32 s0, s0, s13
	s_mul_i32 s36, s29, s0
	s_mul_i32 s37, s5, s0
	s_mul_hi_u32 s38, s4, s0
	s_add_i32 s36, s14, s36
	s_mul_i32 s0, s4, s0
	s_add_i32 s37, s38, s37
	s_mul_i32 s39, s19, s36
	s_mul_hi_u32 s40, s18, s36
	s_mul_hi_u32 s38, s0, 18
	s_mul_i32 s36, s18, s36
	s_mul_i32 s37, s37, 18
	s_add_i32 s39, s40, s39
	s_mul_i32 s0, s0, 18
	s_add_i32 s38, s38, s37
	s_mul_hi_u32 s37, s36, 18
	s_mul_i32 s39, s39, 18
	s_mul_i32 s36, s36, 18
	s_add_u32 s0, s20, s0
	s_addc_u32 s38, s21, s38
	s_add_i32 s37, s37, s39
	s_add_u32 s0, s0, s36
	s_addc_u32 s37, s38, s37
	s_add_u32 s36, s0, s31
	s_addc_u32 s37, s37, s33
	s_add_u32 s14, s14, s30
	v_mad_u64_u32 v[9:10], null, v1, 18, s[36:37]
	s_addc_u32 s15, s15, 0
	v_cmp_ge_i64_e64 s0, s[14:15], s[26:27]
	v_mad_u64_u32 v[10:11], null, v2, 18, v[10:11]
	v_add_co_u32 v11, vcc_lo, v9, v0
	v_add_co_ci_u32_e64 v12, null, 0, v10, vcc_lo
	s_clause 0x1
	global_load_ubyte v11, v[11:12], off offset:2
	global_load_ushort v9, v[9:10], off
	s_and_b32 vcc_lo, exec_lo, s0
	s_waitcnt vmcnt(1)
	v_lshrrev_b32_e32 v10, v7, v11
	v_lshrrev_b32_e32 v11, v8, v11
	s_waitcnt vmcnt(0)
	v_cvt_f32_f16_e32 v12, v9
	v_lshlrev_b32_e32 v9, 1, v10
	v_lshlrev_b32_e32 v10, 1, v11
	v_and_b32_e32 v9, 2, v9
	v_and_b32_e32 v10, 2, v10
	v_add_nc_u32_e32 v9, -1, v9
	v_add_nc_u32_e32 v10, -1, v10
	v_cvt_f32_i32_e32 v9, v9
	v_cvt_f32_i32_e32 v10, v10
	v_mul_f32_e32 v9, v12, v9
	v_mul_f32_e32 v10, v12, v10
	global_store_dwordx2 v[5:6], v[9:10], off offset:-4
	v_add_co_u32 v5, s0, v5, s34
	v_add_co_ci_u32_e64 v6, null, s35, v6, s0
	s_cbranch_vccz .LBB55_6
	s_branch .LBB55_3
.LBB55_7:
	s_endpgm
	.section	.rodata,"a",@progbits
	.p2align	6, 0x0
	.amdhsa_kernel _ZL16dequantize_blockILi128ELi1EXadL_ZL15dequantize_q1_0PKvliR15HIP_vector_typeIfLj2EEEEfEvS1_PT2_lllS2_IjLj3EElll
		.amdhsa_group_segment_fixed_size 0
		.amdhsa_private_segment_fixed_size 0
		.amdhsa_kernarg_size 336
		.amdhsa_user_sgpr_count 6
		.amdhsa_user_sgpr_private_segment_buffer 1
		.amdhsa_user_sgpr_dispatch_ptr 0
		.amdhsa_user_sgpr_queue_ptr 0
		.amdhsa_user_sgpr_kernarg_segment_ptr 1
		.amdhsa_user_sgpr_dispatch_id 0
		.amdhsa_user_sgpr_flat_scratch_init 0
		.amdhsa_user_sgpr_private_segment_size 0
		.amdhsa_wavefront_size32 1
		.amdhsa_uses_dynamic_stack 0
		.amdhsa_system_sgpr_private_segment_wavefront_offset 0
		.amdhsa_system_sgpr_workgroup_id_x 1
		.amdhsa_system_sgpr_workgroup_id_y 1
		.amdhsa_system_sgpr_workgroup_id_z 1
		.amdhsa_system_sgpr_workgroup_info 0
		.amdhsa_system_vgpr_workitem_id 0
		.amdhsa_next_free_vgpr 13
		.amdhsa_next_free_sgpr 41
		.amdhsa_reserve_vcc 1
		.amdhsa_reserve_flat_scratch 0
		.amdhsa_float_round_mode_32 0
		.amdhsa_float_round_mode_16_64 0
		.amdhsa_float_denorm_mode_32 3
		.amdhsa_float_denorm_mode_16_64 3
		.amdhsa_dx10_clamp 1
		.amdhsa_ieee_mode 1
		.amdhsa_fp16_overflow 0
		.amdhsa_workgroup_processor_mode 1
		.amdhsa_memory_ordered 1
		.amdhsa_forward_progress 1
		.amdhsa_shared_vgpr_count 0
		.amdhsa_exception_fp_ieee_invalid_op 0
		.amdhsa_exception_fp_denorm_src 0
		.amdhsa_exception_fp_ieee_div_zero 0
		.amdhsa_exception_fp_ieee_overflow 0
		.amdhsa_exception_fp_ieee_underflow 0
		.amdhsa_exception_fp_ieee_inexact 0
		.amdhsa_exception_int_div_zero 0
	.end_amdhsa_kernel
	.section	.text._ZL16dequantize_blockILi128ELi1EXadL_ZL15dequantize_q1_0PKvliR15HIP_vector_typeIfLj2EEEEfEvS1_PT2_lllS2_IjLj3EElll,"axG",@progbits,_ZL16dequantize_blockILi128ELi1EXadL_ZL15dequantize_q1_0PKvliR15HIP_vector_typeIfLj2EEEEfEvS1_PT2_lllS2_IjLj3EElll,comdat
.Lfunc_end55:
	.size	_ZL16dequantize_blockILi128ELi1EXadL_ZL15dequantize_q1_0PKvliR15HIP_vector_typeIfLj2EEEEfEvS1_PT2_lllS2_IjLj3EElll, .Lfunc_end55-_ZL16dequantize_blockILi128ELi1EXadL_ZL15dequantize_q1_0PKvliR15HIP_vector_typeIfLj2EEEEfEvS1_PT2_lllS2_IjLj3EElll
                                        ; -- End function
	.set _ZL16dequantize_blockILi128ELi1EXadL_ZL15dequantize_q1_0PKvliR15HIP_vector_typeIfLj2EEEEfEvS1_PT2_lllS2_IjLj3EElll.num_vgpr, 13
	.set _ZL16dequantize_blockILi128ELi1EXadL_ZL15dequantize_q1_0PKvliR15HIP_vector_typeIfLj2EEEEfEvS1_PT2_lllS2_IjLj3EElll.num_agpr, 0
	.set _ZL16dequantize_blockILi128ELi1EXadL_ZL15dequantize_q1_0PKvliR15HIP_vector_typeIfLj2EEEEfEvS1_PT2_lllS2_IjLj3EElll.numbered_sgpr, 41
	.set _ZL16dequantize_blockILi128ELi1EXadL_ZL15dequantize_q1_0PKvliR15HIP_vector_typeIfLj2EEEEfEvS1_PT2_lllS2_IjLj3EElll.num_named_barrier, 0
	.set _ZL16dequantize_blockILi128ELi1EXadL_ZL15dequantize_q1_0PKvliR15HIP_vector_typeIfLj2EEEEfEvS1_PT2_lllS2_IjLj3EElll.private_seg_size, 0
	.set _ZL16dequantize_blockILi128ELi1EXadL_ZL15dequantize_q1_0PKvliR15HIP_vector_typeIfLj2EEEEfEvS1_PT2_lllS2_IjLj3EElll.uses_vcc, 1
	.set _ZL16dequantize_blockILi128ELi1EXadL_ZL15dequantize_q1_0PKvliR15HIP_vector_typeIfLj2EEEEfEvS1_PT2_lllS2_IjLj3EElll.uses_flat_scratch, 0
	.set _ZL16dequantize_blockILi128ELi1EXadL_ZL15dequantize_q1_0PKvliR15HIP_vector_typeIfLj2EEEEfEvS1_PT2_lllS2_IjLj3EElll.has_dyn_sized_stack, 0
	.set _ZL16dequantize_blockILi128ELi1EXadL_ZL15dequantize_q1_0PKvliR15HIP_vector_typeIfLj2EEEEfEvS1_PT2_lllS2_IjLj3EElll.has_recursion, 0
	.set _ZL16dequantize_blockILi128ELi1EXadL_ZL15dequantize_q1_0PKvliR15HIP_vector_typeIfLj2EEEEfEvS1_PT2_lllS2_IjLj3EElll.has_indirect_call, 0
	.section	.AMDGPU.csdata,"",@progbits
; Kernel info:
; codeLenInByte = 796
; TotalNumSgprs: 43
; NumVgprs: 13
; ScratchSize: 0
; MemoryBound: 0
; FloatMode: 240
; IeeeMode: 1
; LDSByteSize: 0 bytes/workgroup (compile time only)
; SGPRBlocks: 0
; VGPRBlocks: 1
; NumSGPRsForWavesPerEU: 43
; NumVGPRsForWavesPerEU: 13
; Occupancy: 16
; WaveLimiterHint : 0
; COMPUTE_PGM_RSRC2:SCRATCH_EN: 0
; COMPUTE_PGM_RSRC2:USER_SGPR: 6
; COMPUTE_PGM_RSRC2:TRAP_HANDLER: 0
; COMPUTE_PGM_RSRC2:TGID_X_EN: 1
; COMPUTE_PGM_RSRC2:TGID_Y_EN: 1
; COMPUTE_PGM_RSRC2:TGID_Z_EN: 1
; COMPUTE_PGM_RSRC2:TIDIG_COMP_CNT: 0
	.section	.text._ZL16dequantize_blockILi32ELi2EXadL_ZL15dequantize_q4_0PKvliR15HIP_vector_typeIfLj2EEEEfEvS1_PT2_lllS2_IjLj3EElll,"axG",@progbits,_ZL16dequantize_blockILi32ELi2EXadL_ZL15dequantize_q4_0PKvliR15HIP_vector_typeIfLj2EEEEfEvS1_PT2_lllS2_IjLj3EElll,comdat
	.globl	_ZL16dequantize_blockILi32ELi2EXadL_ZL15dequantize_q4_0PKvliR15HIP_vector_typeIfLj2EEEEfEvS1_PT2_lllS2_IjLj3EElll ; -- Begin function _ZL16dequantize_blockILi32ELi2EXadL_ZL15dequantize_q4_0PKvliR15HIP_vector_typeIfLj2EEEEfEvS1_PT2_lllS2_IjLj3EElll
	.p2align	8
	.type	_ZL16dequantize_blockILi32ELi2EXadL_ZL15dequantize_q4_0PKvliR15HIP_vector_typeIfLj2EEEEfEvS1_PT2_lllS2_IjLj3EElll,@function
_ZL16dequantize_blockILi32ELi2EXadL_ZL15dequantize_q4_0PKvliR15HIP_vector_typeIfLj2EEEEfEvS1_PT2_lllS2_IjLj3EElll: ; @_ZL16dequantize_blockILi32ELi2EXadL_ZL15dequantize_q4_0PKvliR15HIP_vector_typeIfLj2EEEEfEvS1_PT2_lllS2_IjLj3EElll
; %bb.0:
	s_mov_b32 s10, s7
	s_clause 0x1
	s_load_dword s7, s[4:5], 0x5c
	s_load_dwordx4 s[0:3], s[4:5], 0x10
	v_mov_b32_e32 v1, 0
	s_add_u32 s24, s4, 0x50
	s_addc_u32 s25, s5, 0
	s_waitcnt lgkmcnt(0)
	s_and_b32 s7, s7, 0xffff
	v_mad_u64_u32 v[2:3], null, s7, s6, v[0:1]
	s_mov_b32 s6, exec_lo
	v_lshlrev_b64 v[0:1], 1, v[2:3]
	v_cmpx_gt_i64_e64 s[0:1], v[0:1]
	s_cbranch_execz .LBB56_7
; %bb.1:
	s_load_dwordx2 s[6:7], s[4:5], 0x20
	s_mov_b32 s11, 0
	v_cmp_le_i64_e64 s9, s[2:3], s[10:11]
	s_and_b32 vcc_lo, exec_lo, s9
	s_cbranch_vccnz .LBB56_7
; %bb.2:
	s_mul_i32 s9, s3, s8
	s_mul_hi_u32 s12, s2, s8
	s_mul_i32 s13, s2, s8
	s_add_i32 s12, s12, s9
	v_lshrrev_b64 v[0:1], 4, v[2:3]
	s_add_u32 s9, s13, s10
	s_addc_u32 s12, s12, 0
	s_mul_hi_u32 s13, s0, s9
	s_mul_i32 s12, s0, s12
	s_load_dwordx4 s[20:23], s[4:5], 0x0
	s_add_i32 s12, s13, s12
	s_mul_i32 s13, s1, s9
	v_and_b32_e32 v6, 15, v2
	v_lshlrev_b64 v[2:3], 7, v[0:1]
	s_load_dword s28, s[24:25], 0x4
	s_add_i32 s13, s12, s13
	s_mul_i32 s12, s0, s9
	v_lshlrev_b32_e32 v4, 2, v6
	s_lshl_b64 s[12:13], s[12:13], 2
	s_mul_hi_u32 s26, s2, s0
	v_add_co_u32 v2, vcc_lo, s12, v2
	v_add_co_ci_u32_e64 v3, null, s13, v3, vcc_lo
	s_clause 0x1
	s_load_dwordx8 s[12:19], s[4:5], 0x28
	s_load_dwordx2 s[4:5], s[4:5], 0x48
	v_add_co_u32 v2, vcc_lo, v2, v4
	v_add_co_ci_u32_e64 v3, null, 0, v3, vcc_lo
	s_mov_b32 s9, s11
	s_waitcnt lgkmcnt(0)
	v_add_co_u32 v2, vcc_lo, s22, v2
	v_add_co_ci_u32_e64 v3, null, s23, v3, vcc_lo
	s_mul_i32 s15, s1, s28
	s_mul_hi_u32 s22, s0, s28
	s_mul_i32 s1, s2, s1
	s_add_i32 s23, s22, s15
	s_add_i32 s1, s26, s1
	s_mul_i32 s15, s3, s0
	v_add_co_u32 v2, vcc_lo, v2, 64
	s_add_i32 s27, s1, s15
	v_cmp_gt_i64_e64 s1, s[6:7], s[8:9]
	v_add_co_ci_u32_e64 v3, null, 0, v3, vcc_lo
	s_mul_i32 s22, s0, s28
	s_mul_i32 s26, s2, s0
	s_lshl_b64 s[22:23], s[22:23], 2
	s_lshl_b64 s[26:27], s[26:27], 2
	s_sub_i32 s29, 0, s14
	s_branch .LBB56_4
.LBB56_3:                               ;   in Loop: Header=BB56_4 Depth=1
	s_add_u32 s10, s10, s28
	s_addc_u32 s11, s11, 0
	v_add_co_u32 v2, vcc_lo, v2, s22
	v_cmp_ge_i64_e64 s0, s[10:11], s[2:3]
	v_add_co_ci_u32_e64 v3, null, s23, v3, vcc_lo
	s_and_b32 vcc_lo, exec_lo, s0
	s_cbranch_vccnz .LBB56_7
.LBB56_4:                               ; =>This Loop Header: Depth=1
                                        ;     Child Loop BB56_6 Depth 2
	s_andn2_b32 vcc_lo, exec_lo, s1
	s_cbranch_vccnz .LBB56_3
; %bb.5:                                ;   in Loop: Header=BB56_4 Depth=1
	s_load_dword s30, s[24:25], 0x8
	s_mul_i32 s0, s10, s17
	s_mul_hi_u32 s14, s10, s16
	s_mul_i32 s15, s11, s16
	s_add_i32 s0, s14, s0
	s_mul_i32 s31, s10, s16
	s_add_i32 s0, s0, s15
	v_mov_b32_e32 v5, v3
	s_mul_hi_u32 s33, s31, 18
	s_mul_i32 s0, s0, 18
	v_mov_b32_e32 v4, v2
	s_add_i32 s33, s33, s0
	s_mul_i32 s31, s31, 18
	s_waitcnt lgkmcnt(0)
	s_mul_i32 s0, s27, s30
	s_mul_hi_u32 s14, s26, s30
	s_mul_i32 s34, s26, s30
	s_add_i32 s35, s14, s0
	s_mov_b64 s[14:15], s[8:9]
.LBB56_6:                               ;   Parent Loop BB56_4 Depth=1
                                        ; =>  This Inner Loop Header: Depth=2
	s_mul_hi_u32 s0, s12, s14
	s_add_i32 s0, s14, s0
	s_lshr_b32 s0, s0, s13
	s_mul_i32 s36, s29, s0
	s_mul_i32 s37, s5, s0
	s_mul_hi_u32 s38, s4, s0
	s_add_i32 s36, s14, s36
	s_mul_i32 s0, s4, s0
	s_add_i32 s37, s38, s37
	s_mul_i32 s39, s19, s36
	s_mul_hi_u32 s40, s18, s36
	s_mul_hi_u32 s38, s0, 18
	s_mul_i32 s36, s18, s36
	s_mul_i32 s37, s37, 18
	s_add_i32 s39, s40, s39
	s_mul_i32 s0, s0, 18
	s_add_i32 s38, s38, s37
	s_mul_hi_u32 s37, s36, 18
	s_mul_i32 s39, s39, 18
	s_mul_i32 s36, s36, 18
	s_add_u32 s0, s20, s0
	s_addc_u32 s38, s21, s38
	s_add_i32 s37, s37, s39
	s_add_u32 s0, s0, s36
	s_addc_u32 s37, s38, s37
	s_add_u32 s36, s0, s31
	s_addc_u32 s37, s37, s33
	s_add_u32 s14, s14, s30
	v_mad_u64_u32 v[7:8], null, v0, 18, s[36:37]
	s_addc_u32 s15, s15, 0
	v_cmp_ge_i64_e64 s0, s[14:15], s[6:7]
	v_mad_u64_u32 v[8:9], null, v1, 18, v[8:9]
	v_add_co_u32 v9, vcc_lo, v7, v6
	v_add_co_ci_u32_e64 v10, null, 0, v8, vcc_lo
	s_clause 0x1
	global_load_ubyte v9, v[9:10], off offset:2
	global_load_ushort v7, v[7:8], off
	s_and_b32 vcc_lo, exec_lo, s0
	s_waitcnt vmcnt(1)
	v_and_b32_e32 v8, 15, v9
	v_lshrrev_b32_e32 v9, 4, v9
	s_waitcnt vmcnt(0)
	v_cvt_f32_f16_e32 v7, v7
	v_add_nc_u32_e32 v8, -8, v8
	v_add_nc_u32_e32 v9, -8, v9
	v_cvt_f32_i32_e32 v8, v8
	v_cvt_f32_i32_e32 v9, v9
	v_mul_f32_e32 v8, v7, v8
	v_mul_f32_e32 v7, v7, v9
	global_store_dword v[4:5], v8, off offset:-64
	global_store_dword v[4:5], v7, off
	v_add_co_u32 v4, s0, v4, s34
	v_add_co_ci_u32_e64 v5, null, s35, v5, s0
	s_cbranch_vccz .LBB56_6
	s_branch .LBB56_3
.LBB56_7:
	s_endpgm
	.section	.rodata,"a",@progbits
	.p2align	6, 0x0
	.amdhsa_kernel _ZL16dequantize_blockILi32ELi2EXadL_ZL15dequantize_q4_0PKvliR15HIP_vector_typeIfLj2EEEEfEvS1_PT2_lllS2_IjLj3EElll
		.amdhsa_group_segment_fixed_size 0
		.amdhsa_private_segment_fixed_size 0
		.amdhsa_kernarg_size 336
		.amdhsa_user_sgpr_count 6
		.amdhsa_user_sgpr_private_segment_buffer 1
		.amdhsa_user_sgpr_dispatch_ptr 0
		.amdhsa_user_sgpr_queue_ptr 0
		.amdhsa_user_sgpr_kernarg_segment_ptr 1
		.amdhsa_user_sgpr_dispatch_id 0
		.amdhsa_user_sgpr_flat_scratch_init 0
		.amdhsa_user_sgpr_private_segment_size 0
		.amdhsa_wavefront_size32 1
		.amdhsa_uses_dynamic_stack 0
		.amdhsa_system_sgpr_private_segment_wavefront_offset 0
		.amdhsa_system_sgpr_workgroup_id_x 1
		.amdhsa_system_sgpr_workgroup_id_y 1
		.amdhsa_system_sgpr_workgroup_id_z 1
		.amdhsa_system_sgpr_workgroup_info 0
		.amdhsa_system_vgpr_workitem_id 0
		.amdhsa_next_free_vgpr 11
		.amdhsa_next_free_sgpr 41
		.amdhsa_reserve_vcc 1
		.amdhsa_reserve_flat_scratch 0
		.amdhsa_float_round_mode_32 0
		.amdhsa_float_round_mode_16_64 0
		.amdhsa_float_denorm_mode_32 3
		.amdhsa_float_denorm_mode_16_64 3
		.amdhsa_dx10_clamp 1
		.amdhsa_ieee_mode 1
		.amdhsa_fp16_overflow 0
		.amdhsa_workgroup_processor_mode 1
		.amdhsa_memory_ordered 1
		.amdhsa_forward_progress 1
		.amdhsa_shared_vgpr_count 0
		.amdhsa_exception_fp_ieee_invalid_op 0
		.amdhsa_exception_fp_denorm_src 0
		.amdhsa_exception_fp_ieee_div_zero 0
		.amdhsa_exception_fp_ieee_overflow 0
		.amdhsa_exception_fp_ieee_underflow 0
		.amdhsa_exception_fp_ieee_inexact 0
		.amdhsa_exception_int_div_zero 0
	.end_amdhsa_kernel
	.section	.text._ZL16dequantize_blockILi32ELi2EXadL_ZL15dequantize_q4_0PKvliR15HIP_vector_typeIfLj2EEEEfEvS1_PT2_lllS2_IjLj3EElll,"axG",@progbits,_ZL16dequantize_blockILi32ELi2EXadL_ZL15dequantize_q4_0PKvliR15HIP_vector_typeIfLj2EEEEfEvS1_PT2_lllS2_IjLj3EElll,comdat
.Lfunc_end56:
	.size	_ZL16dequantize_blockILi32ELi2EXadL_ZL15dequantize_q4_0PKvliR15HIP_vector_typeIfLj2EEEEfEvS1_PT2_lllS2_IjLj3EElll, .Lfunc_end56-_ZL16dequantize_blockILi32ELi2EXadL_ZL15dequantize_q4_0PKvliR15HIP_vector_typeIfLj2EEEEfEvS1_PT2_lllS2_IjLj3EElll
                                        ; -- End function
	.set _ZL16dequantize_blockILi32ELi2EXadL_ZL15dequantize_q4_0PKvliR15HIP_vector_typeIfLj2EEEEfEvS1_PT2_lllS2_IjLj3EElll.num_vgpr, 11
	.set _ZL16dequantize_blockILi32ELi2EXadL_ZL15dequantize_q4_0PKvliR15HIP_vector_typeIfLj2EEEEfEvS1_PT2_lllS2_IjLj3EElll.num_agpr, 0
	.set _ZL16dequantize_blockILi32ELi2EXadL_ZL15dequantize_q4_0PKvliR15HIP_vector_typeIfLj2EEEEfEvS1_PT2_lllS2_IjLj3EElll.numbered_sgpr, 41
	.set _ZL16dequantize_blockILi32ELi2EXadL_ZL15dequantize_q4_0PKvliR15HIP_vector_typeIfLj2EEEEfEvS1_PT2_lllS2_IjLj3EElll.num_named_barrier, 0
	.set _ZL16dequantize_blockILi32ELi2EXadL_ZL15dequantize_q4_0PKvliR15HIP_vector_typeIfLj2EEEEfEvS1_PT2_lllS2_IjLj3EElll.private_seg_size, 0
	.set _ZL16dequantize_blockILi32ELi2EXadL_ZL15dequantize_q4_0PKvliR15HIP_vector_typeIfLj2EEEEfEvS1_PT2_lllS2_IjLj3EElll.uses_vcc, 1
	.set _ZL16dequantize_blockILi32ELi2EXadL_ZL15dequantize_q4_0PKvliR15HIP_vector_typeIfLj2EEEEfEvS1_PT2_lllS2_IjLj3EElll.uses_flat_scratch, 0
	.set _ZL16dequantize_blockILi32ELi2EXadL_ZL15dequantize_q4_0PKvliR15HIP_vector_typeIfLj2EEEEfEvS1_PT2_lllS2_IjLj3EElll.has_dyn_sized_stack, 0
	.set _ZL16dequantize_blockILi32ELi2EXadL_ZL15dequantize_q4_0PKvliR15HIP_vector_typeIfLj2EEEEfEvS1_PT2_lllS2_IjLj3EElll.has_recursion, 0
	.set _ZL16dequantize_blockILi32ELi2EXadL_ZL15dequantize_q4_0PKvliR15HIP_vector_typeIfLj2EEEEfEvS1_PT2_lllS2_IjLj3EElll.has_indirect_call, 0
	.section	.AMDGPU.csdata,"",@progbits
; Kernel info:
; codeLenInByte = 756
; TotalNumSgprs: 43
; NumVgprs: 11
; ScratchSize: 0
; MemoryBound: 0
; FloatMode: 240
; IeeeMode: 1
; LDSByteSize: 0 bytes/workgroup (compile time only)
; SGPRBlocks: 0
; VGPRBlocks: 1
; NumSGPRsForWavesPerEU: 43
; NumVGPRsForWavesPerEU: 11
; Occupancy: 16
; WaveLimiterHint : 0
; COMPUTE_PGM_RSRC2:SCRATCH_EN: 0
; COMPUTE_PGM_RSRC2:USER_SGPR: 6
; COMPUTE_PGM_RSRC2:TRAP_HANDLER: 0
; COMPUTE_PGM_RSRC2:TGID_X_EN: 1
; COMPUTE_PGM_RSRC2:TGID_Y_EN: 1
; COMPUTE_PGM_RSRC2:TGID_Z_EN: 1
; COMPUTE_PGM_RSRC2:TIDIG_COMP_CNT: 0
	.section	.text._ZL16dequantize_blockILi32ELi2EXadL_ZL15dequantize_q4_1PKvliR15HIP_vector_typeIfLj2EEEEfEvS1_PT2_lllS2_IjLj3EElll,"axG",@progbits,_ZL16dequantize_blockILi32ELi2EXadL_ZL15dequantize_q4_1PKvliR15HIP_vector_typeIfLj2EEEEfEvS1_PT2_lllS2_IjLj3EElll,comdat
	.globl	_ZL16dequantize_blockILi32ELi2EXadL_ZL15dequantize_q4_1PKvliR15HIP_vector_typeIfLj2EEEEfEvS1_PT2_lllS2_IjLj3EElll ; -- Begin function _ZL16dequantize_blockILi32ELi2EXadL_ZL15dequantize_q4_1PKvliR15HIP_vector_typeIfLj2EEEEfEvS1_PT2_lllS2_IjLj3EElll
	.p2align	8
	.type	_ZL16dequantize_blockILi32ELi2EXadL_ZL15dequantize_q4_1PKvliR15HIP_vector_typeIfLj2EEEEfEvS1_PT2_lllS2_IjLj3EElll,@function
_ZL16dequantize_blockILi32ELi2EXadL_ZL15dequantize_q4_1PKvliR15HIP_vector_typeIfLj2EEEEfEvS1_PT2_lllS2_IjLj3EElll: ; @_ZL16dequantize_blockILi32ELi2EXadL_ZL15dequantize_q4_1PKvliR15HIP_vector_typeIfLj2EEEEfEvS1_PT2_lllS2_IjLj3EElll
; %bb.0:
	s_mov_b32 s10, s7
	s_clause 0x1
	s_load_dword s7, s[4:5], 0x5c
	s_load_dwordx4 s[0:3], s[4:5], 0x10
	v_mov_b32_e32 v1, 0
	s_add_u32 s24, s4, 0x50
	s_addc_u32 s25, s5, 0
	s_waitcnt lgkmcnt(0)
	s_and_b32 s7, s7, 0xffff
	v_mad_u64_u32 v[2:3], null, s7, s6, v[0:1]
	s_mov_b32 s6, exec_lo
	v_lshlrev_b64 v[0:1], 1, v[2:3]
	v_cmpx_gt_i64_e64 s[0:1], v[0:1]
	s_cbranch_execz .LBB57_7
; %bb.1:
	s_load_dwordx2 s[6:7], s[4:5], 0x20
	s_mov_b32 s11, 0
	v_cmp_le_i64_e64 s9, s[2:3], s[10:11]
	s_and_b32 vcc_lo, exec_lo, s9
	s_cbranch_vccnz .LBB57_7
; %bb.2:
	s_mul_i32 s9, s3, s8
	s_mul_hi_u32 s12, s2, s8
	s_mul_i32 s13, s2, s8
	s_add_i32 s12, s12, s9
	v_lshrrev_b64 v[0:1], 4, v[2:3]
	s_add_u32 s9, s13, s10
	s_addc_u32 s12, s12, 0
	s_mul_hi_u32 s13, s0, s9
	s_mul_i32 s12, s0, s12
	s_load_dwordx4 s[20:23], s[4:5], 0x0
	s_add_i32 s12, s13, s12
	s_mul_i32 s13, s1, s9
	v_and_b32_e32 v6, 15, v2
	v_lshlrev_b64 v[2:3], 7, v[0:1]
	s_load_dword s28, s[24:25], 0x4
	s_add_i32 s13, s12, s13
	s_mul_i32 s12, s0, s9
	v_lshlrev_b32_e32 v4, 2, v6
	s_lshl_b64 s[12:13], s[12:13], 2
	s_mul_hi_u32 s26, s2, s0
	v_add_co_u32 v2, vcc_lo, s12, v2
	v_add_co_ci_u32_e64 v3, null, s13, v3, vcc_lo
	s_clause 0x1
	s_load_dwordx8 s[12:19], s[4:5], 0x28
	s_load_dwordx2 s[4:5], s[4:5], 0x48
	v_add_co_u32 v2, vcc_lo, v2, v4
	v_add_co_ci_u32_e64 v3, null, 0, v3, vcc_lo
	s_mov_b32 s9, s11
	s_waitcnt lgkmcnt(0)
	v_add_co_u32 v2, vcc_lo, s22, v2
	v_add_co_ci_u32_e64 v3, null, s23, v3, vcc_lo
	s_mul_i32 s15, s1, s28
	s_mul_hi_u32 s22, s0, s28
	s_mul_i32 s1, s2, s1
	s_add_i32 s23, s22, s15
	s_add_i32 s1, s26, s1
	s_mul_i32 s15, s3, s0
	v_add_co_u32 v2, vcc_lo, v2, 64
	s_add_i32 s27, s1, s15
	v_cmp_gt_i64_e64 s1, s[6:7], s[8:9]
	v_add_co_ci_u32_e64 v3, null, 0, v3, vcc_lo
	s_mul_i32 s22, s0, s28
	s_mul_i32 s26, s2, s0
	s_lshl_b64 s[22:23], s[22:23], 2
	s_lshl_b64 s[26:27], s[26:27], 2
	s_sub_i32 s29, 0, s14
	s_branch .LBB57_4
.LBB57_3:                               ;   in Loop: Header=BB57_4 Depth=1
	s_add_u32 s10, s10, s28
	s_addc_u32 s11, s11, 0
	v_add_co_u32 v2, vcc_lo, v2, s22
	v_cmp_ge_i64_e64 s0, s[10:11], s[2:3]
	v_add_co_ci_u32_e64 v3, null, s23, v3, vcc_lo
	s_and_b32 vcc_lo, exec_lo, s0
	s_cbranch_vccnz .LBB57_7
.LBB57_4:                               ; =>This Loop Header: Depth=1
                                        ;     Child Loop BB57_6 Depth 2
	s_andn2_b32 vcc_lo, exec_lo, s1
	s_cbranch_vccnz .LBB57_3
; %bb.5:                                ;   in Loop: Header=BB57_4 Depth=1
	s_load_dword s30, s[24:25], 0x8
	s_mul_i32 s0, s10, s17
	s_mul_hi_u32 s14, s10, s16
	s_mul_i32 s15, s11, s16
	s_add_i32 s0, s14, s0
	s_mul_i32 s31, s10, s16
	s_add_i32 s0, s0, s15
	v_mov_b32_e32 v5, v3
	s_mul_hi_u32 s33, s31, 20
	s_mul_i32 s0, s0, 20
	v_mov_b32_e32 v4, v2
	s_add_i32 s33, s33, s0
	s_mul_i32 s31, s31, 20
	s_waitcnt lgkmcnt(0)
	s_mul_i32 s0, s27, s30
	s_mul_hi_u32 s14, s26, s30
	s_mul_i32 s34, s26, s30
	s_add_i32 s35, s14, s0
	s_mov_b64 s[14:15], s[8:9]
.LBB57_6:                               ;   Parent Loop BB57_4 Depth=1
                                        ; =>  This Inner Loop Header: Depth=2
	s_mul_hi_u32 s0, s12, s14
	s_add_i32 s0, s14, s0
	s_lshr_b32 s0, s0, s13
	s_mul_i32 s36, s29, s0
	s_mul_i32 s37, s5, s0
	s_mul_hi_u32 s38, s4, s0
	s_add_i32 s36, s14, s36
	s_mul_i32 s0, s4, s0
	s_add_i32 s37, s38, s37
	s_mul_i32 s39, s19, s36
	s_mul_hi_u32 s40, s18, s36
	s_mul_hi_u32 s38, s0, 20
	s_mul_i32 s36, s18, s36
	s_mul_i32 s37, s37, 20
	s_add_i32 s39, s40, s39
	s_mul_i32 s0, s0, 20
	s_add_i32 s38, s38, s37
	s_mul_hi_u32 s37, s36, 20
	s_mul_i32 s39, s39, 20
	s_mul_i32 s36, s36, 20
	s_add_u32 s0, s20, s0
	s_addc_u32 s38, s21, s38
	s_add_i32 s37, s37, s39
	s_add_u32 s0, s0, s36
	s_addc_u32 s37, s38, s37
	s_add_u32 s36, s0, s31
	s_addc_u32 s37, s37, s33
	s_add_u32 s14, s14, s30
	v_mad_u64_u32 v[7:8], null, v0, 20, s[36:37]
	s_addc_u32 s15, s15, 0
	v_cmp_ge_i64_e64 s0, s[14:15], s[6:7]
	v_mad_u64_u32 v[8:9], null, v1, 20, v[8:9]
	v_add_co_u32 v9, vcc_lo, v7, v6
	v_add_co_ci_u32_e64 v10, null, 0, v8, vcc_lo
	s_clause 0x1
	global_load_ubyte v9, v[9:10], off offset:4
	global_load_dword v7, v[7:8], off
	s_and_b32 vcc_lo, exec_lo, s0
	s_waitcnt vmcnt(1)
	v_and_b32_e32 v8, 15, v9
	v_lshrrev_b32_e32 v9, 4, v9
	v_cvt_f32_ubyte0_e32 v8, v8
	v_cvt_f32_ubyte0_e32 v9, v9
	s_waitcnt vmcnt(0)
	v_fma_mix_f32 v8, v7, v8, v7 op_sel:[0,0,1] op_sel_hi:[1,0,1]
	v_fma_mix_f32 v7, v7, v9, v7 op_sel:[0,0,1] op_sel_hi:[1,0,1]
	global_store_dword v[4:5], v8, off offset:-64
	global_store_dword v[4:5], v7, off
	v_add_co_u32 v4, s0, v4, s34
	v_add_co_ci_u32_e64 v5, null, s35, v5, s0
	s_cbranch_vccz .LBB57_6
	s_branch .LBB57_3
.LBB57_7:
	s_endpgm
	.section	.rodata,"a",@progbits
	.p2align	6, 0x0
	.amdhsa_kernel _ZL16dequantize_blockILi32ELi2EXadL_ZL15dequantize_q4_1PKvliR15HIP_vector_typeIfLj2EEEEfEvS1_PT2_lllS2_IjLj3EElll
		.amdhsa_group_segment_fixed_size 0
		.amdhsa_private_segment_fixed_size 0
		.amdhsa_kernarg_size 336
		.amdhsa_user_sgpr_count 6
		.amdhsa_user_sgpr_private_segment_buffer 1
		.amdhsa_user_sgpr_dispatch_ptr 0
		.amdhsa_user_sgpr_queue_ptr 0
		.amdhsa_user_sgpr_kernarg_segment_ptr 1
		.amdhsa_user_sgpr_dispatch_id 0
		.amdhsa_user_sgpr_flat_scratch_init 0
		.amdhsa_user_sgpr_private_segment_size 0
		.amdhsa_wavefront_size32 1
		.amdhsa_uses_dynamic_stack 0
		.amdhsa_system_sgpr_private_segment_wavefront_offset 0
		.amdhsa_system_sgpr_workgroup_id_x 1
		.amdhsa_system_sgpr_workgroup_id_y 1
		.amdhsa_system_sgpr_workgroup_id_z 1
		.amdhsa_system_sgpr_workgroup_info 0
		.amdhsa_system_vgpr_workitem_id 0
		.amdhsa_next_free_vgpr 11
		.amdhsa_next_free_sgpr 41
		.amdhsa_reserve_vcc 1
		.amdhsa_reserve_flat_scratch 0
		.amdhsa_float_round_mode_32 0
		.amdhsa_float_round_mode_16_64 0
		.amdhsa_float_denorm_mode_32 3
		.amdhsa_float_denorm_mode_16_64 3
		.amdhsa_dx10_clamp 1
		.amdhsa_ieee_mode 1
		.amdhsa_fp16_overflow 0
		.amdhsa_workgroup_processor_mode 1
		.amdhsa_memory_ordered 1
		.amdhsa_forward_progress 1
		.amdhsa_shared_vgpr_count 0
		.amdhsa_exception_fp_ieee_invalid_op 0
		.amdhsa_exception_fp_denorm_src 0
		.amdhsa_exception_fp_ieee_div_zero 0
		.amdhsa_exception_fp_ieee_overflow 0
		.amdhsa_exception_fp_ieee_underflow 0
		.amdhsa_exception_fp_ieee_inexact 0
		.amdhsa_exception_int_div_zero 0
	.end_amdhsa_kernel
	.section	.text._ZL16dequantize_blockILi32ELi2EXadL_ZL15dequantize_q4_1PKvliR15HIP_vector_typeIfLj2EEEEfEvS1_PT2_lllS2_IjLj3EElll,"axG",@progbits,_ZL16dequantize_blockILi32ELi2EXadL_ZL15dequantize_q4_1PKvliR15HIP_vector_typeIfLj2EEEEfEvS1_PT2_lllS2_IjLj3EElll,comdat
.Lfunc_end57:
	.size	_ZL16dequantize_blockILi32ELi2EXadL_ZL15dequantize_q4_1PKvliR15HIP_vector_typeIfLj2EEEEfEvS1_PT2_lllS2_IjLj3EElll, .Lfunc_end57-_ZL16dequantize_blockILi32ELi2EXadL_ZL15dequantize_q4_1PKvliR15HIP_vector_typeIfLj2EEEEfEvS1_PT2_lllS2_IjLj3EElll
                                        ; -- End function
	.set _ZL16dequantize_blockILi32ELi2EXadL_ZL15dequantize_q4_1PKvliR15HIP_vector_typeIfLj2EEEEfEvS1_PT2_lllS2_IjLj3EElll.num_vgpr, 11
	.set _ZL16dequantize_blockILi32ELi2EXadL_ZL15dequantize_q4_1PKvliR15HIP_vector_typeIfLj2EEEEfEvS1_PT2_lllS2_IjLj3EElll.num_agpr, 0
	.set _ZL16dequantize_blockILi32ELi2EXadL_ZL15dequantize_q4_1PKvliR15HIP_vector_typeIfLj2EEEEfEvS1_PT2_lllS2_IjLj3EElll.numbered_sgpr, 41
	.set _ZL16dequantize_blockILi32ELi2EXadL_ZL15dequantize_q4_1PKvliR15HIP_vector_typeIfLj2EEEEfEvS1_PT2_lllS2_IjLj3EElll.num_named_barrier, 0
	.set _ZL16dequantize_blockILi32ELi2EXadL_ZL15dequantize_q4_1PKvliR15HIP_vector_typeIfLj2EEEEfEvS1_PT2_lllS2_IjLj3EElll.private_seg_size, 0
	.set _ZL16dequantize_blockILi32ELi2EXadL_ZL15dequantize_q4_1PKvliR15HIP_vector_typeIfLj2EEEEfEvS1_PT2_lllS2_IjLj3EElll.uses_vcc, 1
	.set _ZL16dequantize_blockILi32ELi2EXadL_ZL15dequantize_q4_1PKvliR15HIP_vector_typeIfLj2EEEEfEvS1_PT2_lllS2_IjLj3EElll.uses_flat_scratch, 0
	.set _ZL16dequantize_blockILi32ELi2EXadL_ZL15dequantize_q4_1PKvliR15HIP_vector_typeIfLj2EEEEfEvS1_PT2_lllS2_IjLj3EElll.has_dyn_sized_stack, 0
	.set _ZL16dequantize_blockILi32ELi2EXadL_ZL15dequantize_q4_1PKvliR15HIP_vector_typeIfLj2EEEEfEvS1_PT2_lllS2_IjLj3EElll.has_recursion, 0
	.set _ZL16dequantize_blockILi32ELi2EXadL_ZL15dequantize_q4_1PKvliR15HIP_vector_typeIfLj2EEEEfEvS1_PT2_lllS2_IjLj3EElll.has_indirect_call, 0
	.section	.AMDGPU.csdata,"",@progbits
; Kernel info:
; codeLenInByte = 752
; TotalNumSgprs: 43
; NumVgprs: 11
; ScratchSize: 0
; MemoryBound: 0
; FloatMode: 240
; IeeeMode: 1
; LDSByteSize: 0 bytes/workgroup (compile time only)
; SGPRBlocks: 0
; VGPRBlocks: 1
; NumSGPRsForWavesPerEU: 43
; NumVGPRsForWavesPerEU: 11
; Occupancy: 16
; WaveLimiterHint : 0
; COMPUTE_PGM_RSRC2:SCRATCH_EN: 0
; COMPUTE_PGM_RSRC2:USER_SGPR: 6
; COMPUTE_PGM_RSRC2:TRAP_HANDLER: 0
; COMPUTE_PGM_RSRC2:TGID_X_EN: 1
; COMPUTE_PGM_RSRC2:TGID_Y_EN: 1
; COMPUTE_PGM_RSRC2:TGID_Z_EN: 1
; COMPUTE_PGM_RSRC2:TIDIG_COMP_CNT: 0
	.section	.text._ZL16dequantize_blockILi32ELi2EXadL_ZL15dequantize_q5_0PKvliR15HIP_vector_typeIfLj2EEEEfEvS1_PT2_lllS2_IjLj3EElll,"axG",@progbits,_ZL16dequantize_blockILi32ELi2EXadL_ZL15dequantize_q5_0PKvliR15HIP_vector_typeIfLj2EEEEfEvS1_PT2_lllS2_IjLj3EElll,comdat
	.globl	_ZL16dequantize_blockILi32ELi2EXadL_ZL15dequantize_q5_0PKvliR15HIP_vector_typeIfLj2EEEEfEvS1_PT2_lllS2_IjLj3EElll ; -- Begin function _ZL16dequantize_blockILi32ELi2EXadL_ZL15dequantize_q5_0PKvliR15HIP_vector_typeIfLj2EEEEfEvS1_PT2_lllS2_IjLj3EElll
	.p2align	8
	.type	_ZL16dequantize_blockILi32ELi2EXadL_ZL15dequantize_q5_0PKvliR15HIP_vector_typeIfLj2EEEEfEvS1_PT2_lllS2_IjLj3EElll,@function
_ZL16dequantize_blockILi32ELi2EXadL_ZL15dequantize_q5_0PKvliR15HIP_vector_typeIfLj2EEEEfEvS1_PT2_lllS2_IjLj3EElll: ; @_ZL16dequantize_blockILi32ELi2EXadL_ZL15dequantize_q5_0PKvliR15HIP_vector_typeIfLj2EEEEfEvS1_PT2_lllS2_IjLj3EElll
; %bb.0:
	s_mov_b32 s10, s7
	s_clause 0x1
	s_load_dword s7, s[4:5], 0x5c
	s_load_dwordx4 s[0:3], s[4:5], 0x10
	v_mov_b32_e32 v1, 0
	s_add_u32 s24, s4, 0x50
	s_addc_u32 s25, s5, 0
	s_waitcnt lgkmcnt(0)
	s_and_b32 s7, s7, 0xffff
	v_mad_u64_u32 v[2:3], null, s7, s6, v[0:1]
	s_mov_b32 s6, exec_lo
	v_lshlrev_b64 v[0:1], 1, v[2:3]
	v_cmpx_gt_i64_e64 s[0:1], v[0:1]
	s_cbranch_execz .LBB58_7
; %bb.1:
	s_load_dwordx2 s[6:7], s[4:5], 0x20
	s_mov_b32 s11, 0
	v_cmp_le_i64_e64 s9, s[2:3], s[10:11]
	s_and_b32 vcc_lo, exec_lo, s9
	s_cbranch_vccnz .LBB58_7
; %bb.2:
	s_mul_i32 s9, s3, s8
	s_mul_hi_u32 s12, s2, s8
	s_mul_i32 s13, s2, s8
	s_add_i32 s12, s12, s9
	v_lshrrev_b64 v[0:1], 4, v[2:3]
	s_add_u32 s9, s13, s10
	s_load_dwordx4 s[20:23], s[4:5], 0x0
	s_addc_u32 s12, s12, 0
	s_mul_hi_u32 s27, s0, s9
	s_mul_i32 s26, s0, s12
	s_load_dword s28, s[24:25], 0x4
	s_load_dwordx8 s[12:19], s[4:5], 0x28
	s_waitcnt lgkmcnt(0)
	s_add_i32 s15, s27, s26
	s_mul_i32 s26, s1, s9
	v_and_b32_e32 v6, 15, v2
	v_lshlrev_b64 v[2:3], 7, v[0:1]
	s_add_i32 s27, s15, s26
	s_mul_i32 s26, s0, s9
	s_load_dwordx2 s[4:5], s[4:5], 0x48
	s_lshl_b64 s[26:27], s[26:27], 2
	v_lshlrev_b32_e32 v4, 2, v6
	v_add_co_u32 v2, vcc_lo, s26, v2
	v_add_co_ci_u32_e64 v3, null, s27, v3, vcc_lo
	s_mul_hi_u32 s26, s2, s0
	v_add_co_u32 v2, vcc_lo, v2, v4
	v_add_co_ci_u32_e64 v3, null, 0, v3, vcc_lo
	s_mul_i32 s15, s1, s28
	v_add_co_u32 v2, vcc_lo, s22, v2
	v_add_co_ci_u32_e64 v3, null, s23, v3, vcc_lo
	s_mul_hi_u32 s22, s0, s28
	s_mul_i32 s1, s2, s1
	s_mov_b32 s9, s11
	s_add_i32 s23, s22, s15
	s_add_i32 s1, s26, s1
	s_mul_i32 s15, s3, s0
	v_add_co_u32 v2, vcc_lo, v2, 64
	s_add_i32 s27, s1, s15
	v_cmp_gt_i64_e64 s1, s[6:7], s[8:9]
	v_add_nc_u32_e32 v7, 12, v6
	v_add_co_ci_u32_e64 v3, null, 0, v3, vcc_lo
	s_mul_i32 s22, s0, s28
	s_mul_i32 s26, s2, s0
	s_lshl_b64 s[22:23], s[22:23], 2
	s_lshl_b64 s[26:27], s[26:27], 2
	s_sub_i32 s29, 0, s14
	s_branch .LBB58_4
.LBB58_3:                               ;   in Loop: Header=BB58_4 Depth=1
	s_add_u32 s10, s10, s28
	s_addc_u32 s11, s11, 0
	v_add_co_u32 v2, vcc_lo, v2, s22
	v_cmp_ge_i64_e64 s0, s[10:11], s[2:3]
	v_add_co_ci_u32_e64 v3, null, s23, v3, vcc_lo
	s_and_b32 vcc_lo, exec_lo, s0
	s_cbranch_vccnz .LBB58_7
.LBB58_4:                               ; =>This Loop Header: Depth=1
                                        ;     Child Loop BB58_6 Depth 2
	s_andn2_b32 vcc_lo, exec_lo, s1
	s_cbranch_vccnz .LBB58_3
; %bb.5:                                ;   in Loop: Header=BB58_4 Depth=1
	s_load_dword s30, s[24:25], 0x8
	s_mul_i32 s0, s10, s17
	s_mul_hi_u32 s14, s10, s16
	s_mul_i32 s15, s11, s16
	s_add_i32 s0, s14, s0
	s_mul_i32 s31, s10, s16
	s_add_i32 s0, s0, s15
	v_mov_b32_e32 v5, v3
	s_mul_hi_u32 s33, s31, 22
	s_mul_i32 s0, s0, 22
	v_mov_b32_e32 v4, v2
	s_add_i32 s33, s33, s0
	s_mul_i32 s31, s31, 22
	s_waitcnt lgkmcnt(0)
	s_mul_i32 s0, s27, s30
	s_mul_hi_u32 s14, s26, s30
	s_mul_i32 s34, s26, s30
	s_add_i32 s35, s14, s0
	s_mov_b64 s[14:15], s[8:9]
.LBB58_6:                               ;   Parent Loop BB58_4 Depth=1
                                        ; =>  This Inner Loop Header: Depth=2
	s_mul_hi_u32 s0, s12, s14
	s_add_i32 s0, s14, s0
	s_lshr_b32 s0, s0, s13
	s_mul_i32 s36, s29, s0
	s_mul_i32 s37, s5, s0
	s_mul_hi_u32 s38, s4, s0
	s_add_i32 s36, s14, s36
	s_mul_i32 s0, s4, s0
	s_add_i32 s37, s38, s37
	s_mul_i32 s39, s19, s36
	s_mul_hi_u32 s40, s18, s36
	s_mul_hi_u32 s38, s0, 22
	s_mul_i32 s36, s18, s36
	s_mul_i32 s37, s37, 22
	s_add_i32 s39, s40, s39
	s_mul_i32 s0, s0, 22
	s_add_i32 s38, s38, s37
	s_mul_hi_u32 s37, s36, 22
	s_mul_i32 s39, s39, 22
	s_mul_i32 s36, s36, 22
	s_add_u32 s0, s20, s0
	s_addc_u32 s38, s21, s38
	s_add_i32 s37, s37, s39
	s_add_u32 s0, s0, s36
	s_addc_u32 s37, s38, s37
	s_add_u32 s36, s0, s31
	s_addc_u32 s37, s37, s33
	s_add_u32 s14, s14, s30
	v_mad_u64_u32 v[8:9], null, v0, 22, s[36:37]
	s_addc_u32 s15, s15, 0
	v_cmp_ge_i64_e64 s0, s[14:15], s[6:7]
	v_mad_u64_u32 v[10:11], null, v1, 22, v[9:10]
	v_add_co_u32 v11, vcc_lo, v8, v6
	v_mov_b32_e32 v9, v10
	v_add_co_ci_u32_e64 v12, null, 0, v10, vcc_lo
	s_clause 0x2
	global_load_dword v10, v[8:9], off
	global_load_ushort v8, v[8:9], off offset:4
	global_load_ubyte v9, v[11:12], off offset:6
	s_and_b32 vcc_lo, exec_lo, s0
	s_waitcnt vmcnt(1)
	v_perm_b32 v8, v10, v8, 0x1000706
	s_waitcnt vmcnt(0)
	v_lshrrev_b16 v11, 4, v9
	v_or_b32_e32 v9, -16, v9
	v_cvt_f32_f16_e32 v10, v10
	v_lshrrev_b32_e32 v12, v6, v8
	v_lshrrev_b32_e32 v8, v7, v8
	v_or_b32_e32 v11, -16, v11
	v_lshlrev_b32_e32 v12, 4, v12
	v_and_b32_e32 v8, 16, v8
	v_and_b32_e32 v12, 16, v12
	v_add_nc_u32_sdwa v8, v8, sext(v11) dst_sel:DWORD dst_unused:UNUSED_PAD src0_sel:DWORD src1_sel:WORD_0
	v_add_nc_u32_e32 v9, v9, v12
	v_cvt_f32_i32_e32 v8, v8
	v_cvt_f32_i32_e32 v9, v9
	v_mul_f32_e32 v8, v10, v8
	v_mul_f32_e32 v9, v10, v9
	global_store_dword v[4:5], v8, off
	global_store_dword v[4:5], v9, off offset:-64
	v_add_co_u32 v4, s0, v4, s34
	v_add_co_ci_u32_e64 v5, null, s35, v5, s0
	s_cbranch_vccz .LBB58_6
	s_branch .LBB58_3
.LBB58_7:
	s_endpgm
	.section	.rodata,"a",@progbits
	.p2align	6, 0x0
	.amdhsa_kernel _ZL16dequantize_blockILi32ELi2EXadL_ZL15dequantize_q5_0PKvliR15HIP_vector_typeIfLj2EEEEfEvS1_PT2_lllS2_IjLj3EElll
		.amdhsa_group_segment_fixed_size 0
		.amdhsa_private_segment_fixed_size 0
		.amdhsa_kernarg_size 336
		.amdhsa_user_sgpr_count 6
		.amdhsa_user_sgpr_private_segment_buffer 1
		.amdhsa_user_sgpr_dispatch_ptr 0
		.amdhsa_user_sgpr_queue_ptr 0
		.amdhsa_user_sgpr_kernarg_segment_ptr 1
		.amdhsa_user_sgpr_dispatch_id 0
		.amdhsa_user_sgpr_flat_scratch_init 0
		.amdhsa_user_sgpr_private_segment_size 0
		.amdhsa_wavefront_size32 1
		.amdhsa_uses_dynamic_stack 0
		.amdhsa_system_sgpr_private_segment_wavefront_offset 0
		.amdhsa_system_sgpr_workgroup_id_x 1
		.amdhsa_system_sgpr_workgroup_id_y 1
		.amdhsa_system_sgpr_workgroup_id_z 1
		.amdhsa_system_sgpr_workgroup_info 0
		.amdhsa_system_vgpr_workitem_id 0
		.amdhsa_next_free_vgpr 13
		.amdhsa_next_free_sgpr 41
		.amdhsa_reserve_vcc 1
		.amdhsa_reserve_flat_scratch 0
		.amdhsa_float_round_mode_32 0
		.amdhsa_float_round_mode_16_64 0
		.amdhsa_float_denorm_mode_32 3
		.amdhsa_float_denorm_mode_16_64 3
		.amdhsa_dx10_clamp 1
		.amdhsa_ieee_mode 1
		.amdhsa_fp16_overflow 0
		.amdhsa_workgroup_processor_mode 1
		.amdhsa_memory_ordered 1
		.amdhsa_forward_progress 1
		.amdhsa_shared_vgpr_count 0
		.amdhsa_exception_fp_ieee_invalid_op 0
		.amdhsa_exception_fp_denorm_src 0
		.amdhsa_exception_fp_ieee_div_zero 0
		.amdhsa_exception_fp_ieee_overflow 0
		.amdhsa_exception_fp_ieee_underflow 0
		.amdhsa_exception_fp_ieee_inexact 0
		.amdhsa_exception_int_div_zero 0
	.end_amdhsa_kernel
	.section	.text._ZL16dequantize_blockILi32ELi2EXadL_ZL15dequantize_q5_0PKvliR15HIP_vector_typeIfLj2EEEEfEvS1_PT2_lllS2_IjLj3EElll,"axG",@progbits,_ZL16dequantize_blockILi32ELi2EXadL_ZL15dequantize_q5_0PKvliR15HIP_vector_typeIfLj2EEEEfEvS1_PT2_lllS2_IjLj3EElll,comdat
.Lfunc_end58:
	.size	_ZL16dequantize_blockILi32ELi2EXadL_ZL15dequantize_q5_0PKvliR15HIP_vector_typeIfLj2EEEEfEvS1_PT2_lllS2_IjLj3EElll, .Lfunc_end58-_ZL16dequantize_blockILi32ELi2EXadL_ZL15dequantize_q5_0PKvliR15HIP_vector_typeIfLj2EEEEfEvS1_PT2_lllS2_IjLj3EElll
                                        ; -- End function
	.set _ZL16dequantize_blockILi32ELi2EXadL_ZL15dequantize_q5_0PKvliR15HIP_vector_typeIfLj2EEEEfEvS1_PT2_lllS2_IjLj3EElll.num_vgpr, 13
	.set _ZL16dequantize_blockILi32ELi2EXadL_ZL15dequantize_q5_0PKvliR15HIP_vector_typeIfLj2EEEEfEvS1_PT2_lllS2_IjLj3EElll.num_agpr, 0
	.set _ZL16dequantize_blockILi32ELi2EXadL_ZL15dequantize_q5_0PKvliR15HIP_vector_typeIfLj2EEEEfEvS1_PT2_lllS2_IjLj3EElll.numbered_sgpr, 41
	.set _ZL16dequantize_blockILi32ELi2EXadL_ZL15dequantize_q5_0PKvliR15HIP_vector_typeIfLj2EEEEfEvS1_PT2_lllS2_IjLj3EElll.num_named_barrier, 0
	.set _ZL16dequantize_blockILi32ELi2EXadL_ZL15dequantize_q5_0PKvliR15HIP_vector_typeIfLj2EEEEfEvS1_PT2_lllS2_IjLj3EElll.private_seg_size, 0
	.set _ZL16dequantize_blockILi32ELi2EXadL_ZL15dequantize_q5_0PKvliR15HIP_vector_typeIfLj2EEEEfEvS1_PT2_lllS2_IjLj3EElll.uses_vcc, 1
	.set _ZL16dequantize_blockILi32ELi2EXadL_ZL15dequantize_q5_0PKvliR15HIP_vector_typeIfLj2EEEEfEvS1_PT2_lllS2_IjLj3EElll.uses_flat_scratch, 0
	.set _ZL16dequantize_blockILi32ELi2EXadL_ZL15dequantize_q5_0PKvliR15HIP_vector_typeIfLj2EEEEfEvS1_PT2_lllS2_IjLj3EElll.has_dyn_sized_stack, 0
	.set _ZL16dequantize_blockILi32ELi2EXadL_ZL15dequantize_q5_0PKvliR15HIP_vector_typeIfLj2EEEEfEvS1_PT2_lllS2_IjLj3EElll.has_recursion, 0
	.set _ZL16dequantize_blockILi32ELi2EXadL_ZL15dequantize_q5_0PKvliR15HIP_vector_typeIfLj2EEEEfEvS1_PT2_lllS2_IjLj3EElll.has_indirect_call, 0
	.section	.AMDGPU.csdata,"",@progbits
; Kernel info:
; codeLenInByte = 812
; TotalNumSgprs: 43
; NumVgprs: 13
; ScratchSize: 0
; MemoryBound: 0
; FloatMode: 240
; IeeeMode: 1
; LDSByteSize: 0 bytes/workgroup (compile time only)
; SGPRBlocks: 0
; VGPRBlocks: 1
; NumSGPRsForWavesPerEU: 43
; NumVGPRsForWavesPerEU: 13
; Occupancy: 16
; WaveLimiterHint : 0
; COMPUTE_PGM_RSRC2:SCRATCH_EN: 0
; COMPUTE_PGM_RSRC2:USER_SGPR: 6
; COMPUTE_PGM_RSRC2:TRAP_HANDLER: 0
; COMPUTE_PGM_RSRC2:TGID_X_EN: 1
; COMPUTE_PGM_RSRC2:TGID_Y_EN: 1
; COMPUTE_PGM_RSRC2:TGID_Z_EN: 1
; COMPUTE_PGM_RSRC2:TIDIG_COMP_CNT: 0
	.section	.text._ZL16dequantize_blockILi32ELi2EXadL_ZL15dequantize_q5_1PKvliR15HIP_vector_typeIfLj2EEEEfEvS1_PT2_lllS2_IjLj3EElll,"axG",@progbits,_ZL16dequantize_blockILi32ELi2EXadL_ZL15dequantize_q5_1PKvliR15HIP_vector_typeIfLj2EEEEfEvS1_PT2_lllS2_IjLj3EElll,comdat
	.globl	_ZL16dequantize_blockILi32ELi2EXadL_ZL15dequantize_q5_1PKvliR15HIP_vector_typeIfLj2EEEEfEvS1_PT2_lllS2_IjLj3EElll ; -- Begin function _ZL16dequantize_blockILi32ELi2EXadL_ZL15dequantize_q5_1PKvliR15HIP_vector_typeIfLj2EEEEfEvS1_PT2_lllS2_IjLj3EElll
	.p2align	8
	.type	_ZL16dequantize_blockILi32ELi2EXadL_ZL15dequantize_q5_1PKvliR15HIP_vector_typeIfLj2EEEEfEvS1_PT2_lllS2_IjLj3EElll,@function
_ZL16dequantize_blockILi32ELi2EXadL_ZL15dequantize_q5_1PKvliR15HIP_vector_typeIfLj2EEEEfEvS1_PT2_lllS2_IjLj3EElll: ; @_ZL16dequantize_blockILi32ELi2EXadL_ZL15dequantize_q5_1PKvliR15HIP_vector_typeIfLj2EEEEfEvS1_PT2_lllS2_IjLj3EElll
; %bb.0:
	s_mov_b32 s10, s7
	s_clause 0x1
	s_load_dword s7, s[4:5], 0x5c
	s_load_dwordx4 s[0:3], s[4:5], 0x10
	v_mov_b32_e32 v1, 0
	s_add_u32 s24, s4, 0x50
	s_addc_u32 s25, s5, 0
	s_waitcnt lgkmcnt(0)
	s_and_b32 s7, s7, 0xffff
	v_mad_u64_u32 v[2:3], null, s7, s6, v[0:1]
	s_mov_b32 s6, exec_lo
	v_lshlrev_b64 v[0:1], 1, v[2:3]
	v_cmpx_gt_i64_e64 s[0:1], v[0:1]
	s_cbranch_execz .LBB59_7
; %bb.1:
	s_load_dwordx2 s[6:7], s[4:5], 0x20
	s_mov_b32 s11, 0
	v_cmp_le_i64_e64 s9, s[2:3], s[10:11]
	s_and_b32 vcc_lo, exec_lo, s9
	s_cbranch_vccnz .LBB59_7
; %bb.2:
	s_mul_i32 s9, s3, s8
	s_mul_hi_u32 s12, s2, s8
	s_mul_i32 s13, s2, s8
	s_add_i32 s12, s12, s9
	v_lshrrev_b64 v[0:1], 4, v[2:3]
	s_add_u32 s9, s13, s10
	s_load_dwordx4 s[20:23], s[4:5], 0x0
	s_addc_u32 s12, s12, 0
	s_mul_hi_u32 s27, s0, s9
	s_mul_i32 s26, s0, s12
	s_load_dword s28, s[24:25], 0x4
	s_load_dwordx8 s[12:19], s[4:5], 0x28
	s_waitcnt lgkmcnt(0)
	s_add_i32 s15, s27, s26
	s_mul_i32 s26, s1, s9
	v_and_b32_e32 v6, 15, v2
	v_lshlrev_b64 v[2:3], 7, v[0:1]
	s_add_i32 s27, s15, s26
	s_mul_i32 s26, s0, s9
	s_load_dwordx2 s[4:5], s[4:5], 0x48
	s_lshl_b64 s[26:27], s[26:27], 2
	v_lshlrev_b32_e32 v4, 2, v6
	v_add_co_u32 v2, vcc_lo, s26, v2
	v_add_co_ci_u32_e64 v3, null, s27, v3, vcc_lo
	s_mul_hi_u32 s26, s2, s0
	v_add_co_u32 v2, vcc_lo, v2, v4
	v_add_co_ci_u32_e64 v3, null, 0, v3, vcc_lo
	s_mul_i32 s15, s1, s28
	v_add_co_u32 v2, vcc_lo, s22, v2
	v_add_co_ci_u32_e64 v3, null, s23, v3, vcc_lo
	s_mul_hi_u32 s22, s0, s28
	s_mul_i32 s1, s2, s1
	s_mov_b32 s9, s11
	s_add_i32 s23, s22, s15
	s_add_i32 s1, s26, s1
	s_mul_i32 s15, s3, s0
	v_add_co_u32 v2, vcc_lo, v2, 64
	s_add_i32 s27, s1, s15
	v_cmp_gt_i64_e64 s1, s[6:7], s[8:9]
	v_add_nc_u32_e32 v7, 12, v6
	v_add_co_ci_u32_e64 v3, null, 0, v3, vcc_lo
	s_mul_i32 s22, s0, s28
	s_mul_i32 s26, s2, s0
	s_lshl_b64 s[22:23], s[22:23], 2
	s_lshl_b64 s[26:27], s[26:27], 2
	s_sub_i32 s29, 0, s14
	s_branch .LBB59_4
.LBB59_3:                               ;   in Loop: Header=BB59_4 Depth=1
	s_add_u32 s10, s10, s28
	s_addc_u32 s11, s11, 0
	v_add_co_u32 v2, vcc_lo, v2, s22
	v_cmp_ge_i64_e64 s0, s[10:11], s[2:3]
	v_add_co_ci_u32_e64 v3, null, s23, v3, vcc_lo
	s_and_b32 vcc_lo, exec_lo, s0
	s_cbranch_vccnz .LBB59_7
.LBB59_4:                               ; =>This Loop Header: Depth=1
                                        ;     Child Loop BB59_6 Depth 2
	s_andn2_b32 vcc_lo, exec_lo, s1
	s_cbranch_vccnz .LBB59_3
; %bb.5:                                ;   in Loop: Header=BB59_4 Depth=1
	s_load_dword s30, s[24:25], 0x8
	s_mul_i32 s0, s10, s17
	s_mul_hi_u32 s14, s10, s16
	s_mul_i32 s15, s11, s16
	s_add_i32 s0, s14, s0
	s_mul_i32 s31, s10, s16
	s_add_i32 s0, s0, s15
	v_mov_b32_e32 v5, v3
	s_mul_hi_u32 s33, s31, 24
	s_mul_i32 s0, s0, 24
	v_mov_b32_e32 v4, v2
	s_add_i32 s33, s33, s0
	s_mul_i32 s31, s31, 24
	s_waitcnt lgkmcnt(0)
	s_mul_i32 s0, s27, s30
	s_mul_hi_u32 s14, s26, s30
	s_mul_i32 s34, s26, s30
	s_add_i32 s35, s14, s0
	s_mov_b64 s[14:15], s[8:9]
.LBB59_6:                               ;   Parent Loop BB59_4 Depth=1
                                        ; =>  This Inner Loop Header: Depth=2
	s_mul_hi_u32 s0, s12, s14
	s_add_i32 s0, s14, s0
	s_lshr_b32 s0, s0, s13
	s_mul_i32 s36, s29, s0
	s_mul_i32 s37, s5, s0
	s_mul_hi_u32 s38, s4, s0
	s_add_i32 s36, s14, s36
	s_mul_i32 s0, s4, s0
	s_add_i32 s37, s38, s37
	s_mul_i32 s39, s19, s36
	s_mul_hi_u32 s40, s18, s36
	s_mul_hi_u32 s38, s0, 24
	s_mul_i32 s36, s18, s36
	s_mul_i32 s37, s37, 24
	s_add_i32 s39, s40, s39
	s_mul_i32 s0, s0, 24
	s_add_i32 s38, s38, s37
	s_mul_hi_u32 s37, s36, 24
	s_mul_i32 s39, s39, 24
	s_mul_i32 s36, s36, 24
	s_add_u32 s0, s20, s0
	s_addc_u32 s38, s21, s38
	s_add_i32 s37, s37, s39
	s_add_u32 s0, s0, s36
	s_addc_u32 s37, s38, s37
	s_add_u32 s36, s0, s31
	s_addc_u32 s37, s37, s33
	s_add_u32 s14, s14, s30
	v_mad_u64_u32 v[8:9], null, v0, 24, s[36:37]
	s_addc_u32 s15, s15, 0
	v_cmp_ge_i64_e64 s0, s[14:15], s[6:7]
	v_mad_u64_u32 v[10:11], null, v1, 24, v[9:10]
	v_add_co_u32 v11, vcc_lo, v8, v6
	v_mov_b32_e32 v9, v10
	v_add_co_ci_u32_e64 v12, null, 0, v10, vcc_lo
	s_clause 0x1
	global_load_dwordx2 v[8:9], v[8:9], off
	global_load_ubyte v10, v[11:12], off offset:8
	s_and_b32 vcc_lo, exec_lo, s0
	s_waitcnt vmcnt(1)
	v_lshrrev_b32_e32 v11, v6, v9
	v_lshrrev_b32_e32 v9, v7, v9
	s_waitcnt vmcnt(0)
	v_and_b32_e32 v12, 15, v10
	v_lshrrev_b16 v10, 4, v10
	v_lshlrev_b32_e32 v11, 4, v11
	v_and_or_b32 v9, v9, 16, v10
	v_and_or_b32 v10, v11, 16, v12
	v_cvt_f32_ubyte0_e32 v9, v9
	v_cvt_f32_ubyte0_e32 v10, v10
	v_fma_mix_f32 v9, v8, v9, v8 op_sel:[0,0,1] op_sel_hi:[1,0,1]
	v_fma_mix_f32 v8, v8, v10, v8 op_sel:[0,0,1] op_sel_hi:[1,0,1]
	global_store_dword v[4:5], v9, off
	global_store_dword v[4:5], v8, off offset:-64
	v_add_co_u32 v4, s0, v4, s34
	v_add_co_ci_u32_e64 v5, null, s35, v5, s0
	s_cbranch_vccz .LBB59_6
	s_branch .LBB59_3
.LBB59_7:
	s_endpgm
	.section	.rodata,"a",@progbits
	.p2align	6, 0x0
	.amdhsa_kernel _ZL16dequantize_blockILi32ELi2EXadL_ZL15dequantize_q5_1PKvliR15HIP_vector_typeIfLj2EEEEfEvS1_PT2_lllS2_IjLj3EElll
		.amdhsa_group_segment_fixed_size 0
		.amdhsa_private_segment_fixed_size 0
		.amdhsa_kernarg_size 336
		.amdhsa_user_sgpr_count 6
		.amdhsa_user_sgpr_private_segment_buffer 1
		.amdhsa_user_sgpr_dispatch_ptr 0
		.amdhsa_user_sgpr_queue_ptr 0
		.amdhsa_user_sgpr_kernarg_segment_ptr 1
		.amdhsa_user_sgpr_dispatch_id 0
		.amdhsa_user_sgpr_flat_scratch_init 0
		.amdhsa_user_sgpr_private_segment_size 0
		.amdhsa_wavefront_size32 1
		.amdhsa_uses_dynamic_stack 0
		.amdhsa_system_sgpr_private_segment_wavefront_offset 0
		.amdhsa_system_sgpr_workgroup_id_x 1
		.amdhsa_system_sgpr_workgroup_id_y 1
		.amdhsa_system_sgpr_workgroup_id_z 1
		.amdhsa_system_sgpr_workgroup_info 0
		.amdhsa_system_vgpr_workitem_id 0
		.amdhsa_next_free_vgpr 13
		.amdhsa_next_free_sgpr 41
		.amdhsa_reserve_vcc 1
		.amdhsa_reserve_flat_scratch 0
		.amdhsa_float_round_mode_32 0
		.amdhsa_float_round_mode_16_64 0
		.amdhsa_float_denorm_mode_32 3
		.amdhsa_float_denorm_mode_16_64 3
		.amdhsa_dx10_clamp 1
		.amdhsa_ieee_mode 1
		.amdhsa_fp16_overflow 0
		.amdhsa_workgroup_processor_mode 1
		.amdhsa_memory_ordered 1
		.amdhsa_forward_progress 1
		.amdhsa_shared_vgpr_count 0
		.amdhsa_exception_fp_ieee_invalid_op 0
		.amdhsa_exception_fp_denorm_src 0
		.amdhsa_exception_fp_ieee_div_zero 0
		.amdhsa_exception_fp_ieee_overflow 0
		.amdhsa_exception_fp_ieee_underflow 0
		.amdhsa_exception_fp_ieee_inexact 0
		.amdhsa_exception_int_div_zero 0
	.end_amdhsa_kernel
	.section	.text._ZL16dequantize_blockILi32ELi2EXadL_ZL15dequantize_q5_1PKvliR15HIP_vector_typeIfLj2EEEEfEvS1_PT2_lllS2_IjLj3EElll,"axG",@progbits,_ZL16dequantize_blockILi32ELi2EXadL_ZL15dequantize_q5_1PKvliR15HIP_vector_typeIfLj2EEEEfEvS1_PT2_lllS2_IjLj3EElll,comdat
.Lfunc_end59:
	.size	_ZL16dequantize_blockILi32ELi2EXadL_ZL15dequantize_q5_1PKvliR15HIP_vector_typeIfLj2EEEEfEvS1_PT2_lllS2_IjLj3EElll, .Lfunc_end59-_ZL16dequantize_blockILi32ELi2EXadL_ZL15dequantize_q5_1PKvliR15HIP_vector_typeIfLj2EEEEfEvS1_PT2_lllS2_IjLj3EElll
                                        ; -- End function
	.set _ZL16dequantize_blockILi32ELi2EXadL_ZL15dequantize_q5_1PKvliR15HIP_vector_typeIfLj2EEEEfEvS1_PT2_lllS2_IjLj3EElll.num_vgpr, 13
	.set _ZL16dequantize_blockILi32ELi2EXadL_ZL15dequantize_q5_1PKvliR15HIP_vector_typeIfLj2EEEEfEvS1_PT2_lllS2_IjLj3EElll.num_agpr, 0
	.set _ZL16dequantize_blockILi32ELi2EXadL_ZL15dequantize_q5_1PKvliR15HIP_vector_typeIfLj2EEEEfEvS1_PT2_lllS2_IjLj3EElll.numbered_sgpr, 41
	.set _ZL16dequantize_blockILi32ELi2EXadL_ZL15dequantize_q5_1PKvliR15HIP_vector_typeIfLj2EEEEfEvS1_PT2_lllS2_IjLj3EElll.num_named_barrier, 0
	.set _ZL16dequantize_blockILi32ELi2EXadL_ZL15dequantize_q5_1PKvliR15HIP_vector_typeIfLj2EEEEfEvS1_PT2_lllS2_IjLj3EElll.private_seg_size, 0
	.set _ZL16dequantize_blockILi32ELi2EXadL_ZL15dequantize_q5_1PKvliR15HIP_vector_typeIfLj2EEEEfEvS1_PT2_lllS2_IjLj3EElll.uses_vcc, 1
	.set _ZL16dequantize_blockILi32ELi2EXadL_ZL15dequantize_q5_1PKvliR15HIP_vector_typeIfLj2EEEEfEvS1_PT2_lllS2_IjLj3EElll.uses_flat_scratch, 0
	.set _ZL16dequantize_blockILi32ELi2EXadL_ZL15dequantize_q5_1PKvliR15HIP_vector_typeIfLj2EEEEfEvS1_PT2_lllS2_IjLj3EElll.has_dyn_sized_stack, 0
	.set _ZL16dequantize_blockILi32ELi2EXadL_ZL15dequantize_q5_1PKvliR15HIP_vector_typeIfLj2EEEEfEvS1_PT2_lllS2_IjLj3EElll.has_recursion, 0
	.set _ZL16dequantize_blockILi32ELi2EXadL_ZL15dequantize_q5_1PKvliR15HIP_vector_typeIfLj2EEEEfEvS1_PT2_lllS2_IjLj3EElll.has_indirect_call, 0
	.section	.AMDGPU.csdata,"",@progbits
; Kernel info:
; codeLenInByte = 788
; TotalNumSgprs: 43
; NumVgprs: 13
; ScratchSize: 0
; MemoryBound: 0
; FloatMode: 240
; IeeeMode: 1
; LDSByteSize: 0 bytes/workgroup (compile time only)
; SGPRBlocks: 0
; VGPRBlocks: 1
; NumSGPRsForWavesPerEU: 43
; NumVGPRsForWavesPerEU: 13
; Occupancy: 16
; WaveLimiterHint : 0
; COMPUTE_PGM_RSRC2:SCRATCH_EN: 0
; COMPUTE_PGM_RSRC2:USER_SGPR: 6
; COMPUTE_PGM_RSRC2:TRAP_HANDLER: 0
; COMPUTE_PGM_RSRC2:TGID_X_EN: 1
; COMPUTE_PGM_RSRC2:TGID_Y_EN: 1
; COMPUTE_PGM_RSRC2:TGID_Z_EN: 1
; COMPUTE_PGM_RSRC2:TIDIG_COMP_CNT: 0
	.section	.text._ZL16dequantize_blockILi32ELi1EXadL_ZL15dequantize_q8_0PKvliR15HIP_vector_typeIfLj2EEEEfEvS1_PT2_lllS2_IjLj3EElll,"axG",@progbits,_ZL16dequantize_blockILi32ELi1EXadL_ZL15dequantize_q8_0PKvliR15HIP_vector_typeIfLj2EEEEfEvS1_PT2_lllS2_IjLj3EElll,comdat
	.globl	_ZL16dequantize_blockILi32ELi1EXadL_ZL15dequantize_q8_0PKvliR15HIP_vector_typeIfLj2EEEEfEvS1_PT2_lllS2_IjLj3EElll ; -- Begin function _ZL16dequantize_blockILi32ELi1EXadL_ZL15dequantize_q8_0PKvliR15HIP_vector_typeIfLj2EEEEfEvS1_PT2_lllS2_IjLj3EElll
	.p2align	8
	.type	_ZL16dequantize_blockILi32ELi1EXadL_ZL15dequantize_q8_0PKvliR15HIP_vector_typeIfLj2EEEEfEvS1_PT2_lllS2_IjLj3EElll,@function
_ZL16dequantize_blockILi32ELi1EXadL_ZL15dequantize_q8_0PKvliR15HIP_vector_typeIfLj2EEEEfEvS1_PT2_lllS2_IjLj3EElll: ; @_ZL16dequantize_blockILi32ELi1EXadL_ZL15dequantize_q8_0PKvliR15HIP_vector_typeIfLj2EEEEfEvS1_PT2_lllS2_IjLj3EElll
; %bb.0:
	s_mov_b32 s10, s7
	s_clause 0x1
	s_load_dword s7, s[4:5], 0x5c
	s_load_dwordx4 s[0:3], s[4:5], 0x10
	v_mov_b32_e32 v1, 0
	s_add_u32 s24, s4, 0x50
	s_addc_u32 s25, s5, 0
	s_waitcnt lgkmcnt(0)
	s_and_b32 s9, s7, 0xffff
	v_mad_u64_u32 v[1:2], null, s9, s6, v[0:1]
	s_mov_b32 s9, exec_lo
	v_lshlrev_b64 v[3:4], 1, v[1:2]
	v_cmpx_gt_i64_e64 s[0:1], v[3:4]
	s_cbranch_execz .LBB60_7
; %bb.1:
	s_load_dwordx2 s[26:27], s[4:5], 0x20
	s_mov_b32 s11, 0
	v_cmp_le_i64_e64 s9, s[2:3], s[10:11]
	s_and_b32 vcc_lo, exec_lo, s9
	s_cbranch_vccnz .LBB60_7
; %bb.2:
	s_mul_i32 s9, s3, s8
	s_mul_hi_u32 s12, s2, s8
	s_mul_i32 s13, s2, s8
	s_add_i32 s12, s12, s9
	v_lshrrev_b64 v[1:2], 4, v[1:2]
	s_mul_i32 s6, s6, s7
	s_add_u32 s9, s13, s10
	s_load_dwordx4 s[20:23], s[4:5], 0x0
	s_addc_u32 s12, s12, 0
	v_add_nc_u16 v0, s6, v0
	s_mul_i32 s12, s0, s12
	s_mul_hi_u32 s7, s0, s9
	s_load_dword s28, s[24:25], 0x4
	s_add_i32 s6, s7, s12
	s_mul_i32 s7, s1, s9
	v_lshlrev_b64 v[4:5], 7, v[1:2]
	v_and_b32_e32 v0, 15, v0
	s_add_i32 s7, s6, s7
	s_mul_i32 s6, s0, s9
	s_load_dwordx8 s[12:19], s[4:5], 0x28
	s_lshl_b64 s[6:7], s[6:7], 2
	v_lshlrev_b32_e32 v0, 3, v0
	v_add_co_u32 v4, vcc_lo, s6, v4
	v_add_co_ci_u32_e64 v5, null, s7, v5, vcc_lo
	s_load_dwordx2 s[4:5], s[4:5], 0x48
	v_add_co_u32 v0, vcc_lo, v4, v0
	v_add_co_ci_u32_e64 v4, null, 0, v5, vcc_lo
	s_waitcnt lgkmcnt(0)
	s_mul_hi_u32 s15, s2, s0
	v_add_co_u32 v5, vcc_lo, s22, v0
	v_add_co_ci_u32_e64 v4, null, s23, v4, vcc_lo
	s_mul_i32 s6, s1, s28
	s_mul_i32 s1, s2, s1
	s_mov_b32 s9, s11
	s_add_i32 s1, s15, s1
	s_mul_i32 s15, s3, s0
	v_and_b32_e32 v0, 30, v3
	v_add_co_u32 v3, vcc_lo, v5, 4
	s_mul_hi_u32 s7, s0, s28
	s_add_i32 s23, s1, s15
	v_cmp_gt_i64_e64 s1, s[26:27], s[8:9]
	v_add_co_ci_u32_e64 v4, null, 0, v4, vcc_lo
	s_add_i32 s7, s7, s6
	s_mul_i32 s6, s0, s28
	s_mul_i32 s22, s2, s0
	s_lshl_b64 s[6:7], s[6:7], 2
	s_lshl_b64 s[22:23], s[22:23], 2
	s_sub_i32 s29, 0, s14
	s_branch .LBB60_4
.LBB60_3:                               ;   in Loop: Header=BB60_4 Depth=1
	s_add_u32 s10, s10, s28
	s_addc_u32 s11, s11, 0
	v_add_co_u32 v3, vcc_lo, v3, s6
	v_cmp_ge_i64_e64 s0, s[10:11], s[2:3]
	v_add_co_ci_u32_e64 v4, null, s7, v4, vcc_lo
	s_and_b32 vcc_lo, exec_lo, s0
	s_cbranch_vccnz .LBB60_7
.LBB60_4:                               ; =>This Loop Header: Depth=1
                                        ;     Child Loop BB60_6 Depth 2
	s_andn2_b32 vcc_lo, exec_lo, s1
	s_cbranch_vccnz .LBB60_3
; %bb.5:                                ;   in Loop: Header=BB60_4 Depth=1
	s_load_dword s30, s[24:25], 0x8
	s_mul_i32 s0, s10, s17
	s_mul_hi_u32 s14, s10, s16
	s_mul_i32 s15, s11, s16
	s_add_i32 s0, s14, s0
	s_mul_i32 s31, s10, s16
	s_add_i32 s0, s0, s15
	v_mov_b32_e32 v6, v4
	s_mul_hi_u32 s33, s31, 34
	s_mul_i32 s0, s0, 34
	v_mov_b32_e32 v5, v3
	s_add_i32 s33, s33, s0
	s_mul_i32 s31, s31, 34
	s_waitcnt lgkmcnt(0)
	s_mul_i32 s0, s23, s30
	s_mul_hi_u32 s14, s22, s30
	s_mul_i32 s34, s22, s30
	s_add_i32 s35, s14, s0
	s_mov_b64 s[14:15], s[8:9]
.LBB60_6:                               ;   Parent Loop BB60_4 Depth=1
                                        ; =>  This Inner Loop Header: Depth=2
	s_mul_hi_u32 s0, s12, s14
	s_add_i32 s0, s14, s0
	s_lshr_b32 s0, s0, s13
	s_mul_i32 s36, s29, s0
	s_mul_i32 s37, s5, s0
	s_mul_hi_u32 s38, s4, s0
	s_add_i32 s36, s14, s36
	s_mul_i32 s0, s4, s0
	s_add_i32 s37, s38, s37
	s_mul_i32 s39, s19, s36
	s_mul_hi_u32 s40, s18, s36
	s_mul_hi_u32 s38, s0, 34
	s_mul_i32 s36, s18, s36
	s_mul_i32 s37, s37, 34
	s_add_i32 s39, s40, s39
	s_mul_i32 s0, s0, 34
	s_add_i32 s38, s38, s37
	s_mul_hi_u32 s37, s36, 34
	s_mul_i32 s39, s39, 34
	s_mul_i32 s36, s36, 34
	s_add_u32 s0, s20, s0
	s_addc_u32 s38, s21, s38
	s_add_i32 s37, s37, s39
	s_add_u32 s0, s0, s36
	s_addc_u32 s37, s38, s37
	s_add_u32 s36, s0, s31
	s_addc_u32 s37, s37, s33
	s_add_u32 s14, s14, s30
	v_mad_u64_u32 v[7:8], null, v1, 34, s[36:37]
	s_addc_u32 s15, s15, 0
	v_cmp_ge_i64_e64 s0, s[14:15], s[26:27]
	v_mad_u64_u32 v[8:9], null, v2, 34, v[8:9]
	v_add_co_u32 v9, vcc_lo, v7, v0
	v_add_co_ci_u32_e64 v10, null, 0, v8, vcc_lo
	s_clause 0x1
	global_load_ushort v9, v[9:10], off offset:2
	global_load_ushort v7, v[7:8], off
	s_and_b32 vcc_lo, exec_lo, s0
	s_waitcnt vmcnt(1)
	v_bfe_i32 v8, v9, 0, 8
	v_ashrrev_i16 v9, 8, v9
	s_waitcnt vmcnt(0)
	v_cvt_f32_f16_e32 v10, v7
	v_cvt_f32_i32_sdwa v7, sext(v8) dst_sel:DWORD dst_unused:UNUSED_PAD src0_sel:WORD_0
	v_cvt_f32_i32_sdwa v8, sext(v9) dst_sel:DWORD dst_unused:UNUSED_PAD src0_sel:WORD_0
	v_mul_f32_e32 v7, v10, v7
	v_mul_f32_e32 v8, v10, v8
	global_store_dwordx2 v[5:6], v[7:8], off offset:-4
	v_add_co_u32 v5, s0, v5, s34
	v_add_co_ci_u32_e64 v6, null, s35, v6, s0
	s_cbranch_vccz .LBB60_6
	s_branch .LBB60_3
.LBB60_7:
	s_endpgm
	.section	.rodata,"a",@progbits
	.p2align	6, 0x0
	.amdhsa_kernel _ZL16dequantize_blockILi32ELi1EXadL_ZL15dequantize_q8_0PKvliR15HIP_vector_typeIfLj2EEEEfEvS1_PT2_lllS2_IjLj3EElll
		.amdhsa_group_segment_fixed_size 0
		.amdhsa_private_segment_fixed_size 0
		.amdhsa_kernarg_size 336
		.amdhsa_user_sgpr_count 6
		.amdhsa_user_sgpr_private_segment_buffer 1
		.amdhsa_user_sgpr_dispatch_ptr 0
		.amdhsa_user_sgpr_queue_ptr 0
		.amdhsa_user_sgpr_kernarg_segment_ptr 1
		.amdhsa_user_sgpr_dispatch_id 0
		.amdhsa_user_sgpr_flat_scratch_init 0
		.amdhsa_user_sgpr_private_segment_size 0
		.amdhsa_wavefront_size32 1
		.amdhsa_uses_dynamic_stack 0
		.amdhsa_system_sgpr_private_segment_wavefront_offset 0
		.amdhsa_system_sgpr_workgroup_id_x 1
		.amdhsa_system_sgpr_workgroup_id_y 1
		.amdhsa_system_sgpr_workgroup_id_z 1
		.amdhsa_system_sgpr_workgroup_info 0
		.amdhsa_system_vgpr_workitem_id 0
		.amdhsa_next_free_vgpr 11
		.amdhsa_next_free_sgpr 41
		.amdhsa_reserve_vcc 1
		.amdhsa_reserve_flat_scratch 0
		.amdhsa_float_round_mode_32 0
		.amdhsa_float_round_mode_16_64 0
		.amdhsa_float_denorm_mode_32 3
		.amdhsa_float_denorm_mode_16_64 3
		.amdhsa_dx10_clamp 1
		.amdhsa_ieee_mode 1
		.amdhsa_fp16_overflow 0
		.amdhsa_workgroup_processor_mode 1
		.amdhsa_memory_ordered 1
		.amdhsa_forward_progress 1
		.amdhsa_shared_vgpr_count 0
		.amdhsa_exception_fp_ieee_invalid_op 0
		.amdhsa_exception_fp_denorm_src 0
		.amdhsa_exception_fp_ieee_div_zero 0
		.amdhsa_exception_fp_ieee_overflow 0
		.amdhsa_exception_fp_ieee_underflow 0
		.amdhsa_exception_fp_ieee_inexact 0
		.amdhsa_exception_int_div_zero 0
	.end_amdhsa_kernel
	.section	.text._ZL16dequantize_blockILi32ELi1EXadL_ZL15dequantize_q8_0PKvliR15HIP_vector_typeIfLj2EEEEfEvS1_PT2_lllS2_IjLj3EElll,"axG",@progbits,_ZL16dequantize_blockILi32ELi1EXadL_ZL15dequantize_q8_0PKvliR15HIP_vector_typeIfLj2EEEEfEvS1_PT2_lllS2_IjLj3EElll,comdat
.Lfunc_end60:
	.size	_ZL16dequantize_blockILi32ELi1EXadL_ZL15dequantize_q8_0PKvliR15HIP_vector_typeIfLj2EEEEfEvS1_PT2_lllS2_IjLj3EElll, .Lfunc_end60-_ZL16dequantize_blockILi32ELi1EXadL_ZL15dequantize_q8_0PKvliR15HIP_vector_typeIfLj2EEEEfEvS1_PT2_lllS2_IjLj3EElll
                                        ; -- End function
	.set _ZL16dequantize_blockILi32ELi1EXadL_ZL15dequantize_q8_0PKvliR15HIP_vector_typeIfLj2EEEEfEvS1_PT2_lllS2_IjLj3EElll.num_vgpr, 11
	.set _ZL16dequantize_blockILi32ELi1EXadL_ZL15dequantize_q8_0PKvliR15HIP_vector_typeIfLj2EEEEfEvS1_PT2_lllS2_IjLj3EElll.num_agpr, 0
	.set _ZL16dequantize_blockILi32ELi1EXadL_ZL15dequantize_q8_0PKvliR15HIP_vector_typeIfLj2EEEEfEvS1_PT2_lllS2_IjLj3EElll.numbered_sgpr, 41
	.set _ZL16dequantize_blockILi32ELi1EXadL_ZL15dequantize_q8_0PKvliR15HIP_vector_typeIfLj2EEEEfEvS1_PT2_lllS2_IjLj3EElll.num_named_barrier, 0
	.set _ZL16dequantize_blockILi32ELi1EXadL_ZL15dequantize_q8_0PKvliR15HIP_vector_typeIfLj2EEEEfEvS1_PT2_lllS2_IjLj3EElll.private_seg_size, 0
	.set _ZL16dequantize_blockILi32ELi1EXadL_ZL15dequantize_q8_0PKvliR15HIP_vector_typeIfLj2EEEEfEvS1_PT2_lllS2_IjLj3EElll.uses_vcc, 1
	.set _ZL16dequantize_blockILi32ELi1EXadL_ZL15dequantize_q8_0PKvliR15HIP_vector_typeIfLj2EEEEfEvS1_PT2_lllS2_IjLj3EElll.uses_flat_scratch, 0
	.set _ZL16dequantize_blockILi32ELi1EXadL_ZL15dequantize_q8_0PKvliR15HIP_vector_typeIfLj2EEEEfEvS1_PT2_lllS2_IjLj3EElll.has_dyn_sized_stack, 0
	.set _ZL16dequantize_blockILi32ELi1EXadL_ZL15dequantize_q8_0PKvliR15HIP_vector_typeIfLj2EEEEfEvS1_PT2_lllS2_IjLj3EElll.has_recursion, 0
	.set _ZL16dequantize_blockILi32ELi1EXadL_ZL15dequantize_q8_0PKvliR15HIP_vector_typeIfLj2EEEEfEvS1_PT2_lllS2_IjLj3EElll.has_indirect_call, 0
	.section	.AMDGPU.csdata,"",@progbits
; Kernel info:
; codeLenInByte = 768
; TotalNumSgprs: 43
; NumVgprs: 11
; ScratchSize: 0
; MemoryBound: 0
; FloatMode: 240
; IeeeMode: 1
; LDSByteSize: 0 bytes/workgroup (compile time only)
; SGPRBlocks: 0
; VGPRBlocks: 1
; NumSGPRsForWavesPerEU: 43
; NumVGPRsForWavesPerEU: 11
; Occupancy: 16
; WaveLimiterHint : 0
; COMPUTE_PGM_RSRC2:SCRATCH_EN: 0
; COMPUTE_PGM_RSRC2:USER_SGPR: 6
; COMPUTE_PGM_RSRC2:TRAP_HANDLER: 0
; COMPUTE_PGM_RSRC2:TGID_X_EN: 1
; COMPUTE_PGM_RSRC2:TGID_Y_EN: 1
; COMPUTE_PGM_RSRC2:TGID_Z_EN: 1
; COMPUTE_PGM_RSRC2:TIDIG_COMP_CNT: 0
	.section	.text._ZL13convert_unaryI14__hip_bfloat16fEvPKvPT0_lll15HIP_vector_typeIjLj3EElll,"axG",@progbits,_ZL13convert_unaryI14__hip_bfloat16fEvPKvPT0_lll15HIP_vector_typeIjLj3EElll,comdat
	.globl	_ZL13convert_unaryI14__hip_bfloat16fEvPKvPT0_lll15HIP_vector_typeIjLj3EElll ; -- Begin function _ZL13convert_unaryI14__hip_bfloat16fEvPKvPT0_lll15HIP_vector_typeIjLj3EElll
	.p2align	8
	.type	_ZL13convert_unaryI14__hip_bfloat16fEvPKvPT0_lll15HIP_vector_typeIjLj3EElll,@function
_ZL13convert_unaryI14__hip_bfloat16fEvPKvPT0_lll15HIP_vector_typeIjLj3EElll: ; @_ZL13convert_unaryI14__hip_bfloat16fEvPKvPT0_lll15HIP_vector_typeIjLj3EElll
; %bb.0:
	s_mov_b32 s10, s7
	s_clause 0x1
	s_load_dword s7, s[4:5], 0x5c
	s_load_dwordx4 s[0:3], s[4:5], 0x10
	v_mov_b32_e32 v1, 0
	s_add_u32 s24, s4, 0x50
	s_addc_u32 s25, s5, 0
	s_waitcnt lgkmcnt(0)
	s_and_b32 s7, s7, 0xffff
	v_mad_u64_u32 v[2:3], null, s7, s6, v[0:1]
	s_mov_b32 s6, exec_lo
	v_cmpx_gt_i64_e64 s[0:1], v[2:3]
	s_cbranch_execz .LBB61_7
; %bb.1:
	s_load_dwordx2 s[6:7], s[4:5], 0x20
	s_mov_b32 s11, 0
	v_cmp_le_i64_e64 s9, s[2:3], s[10:11]
	s_and_b32 vcc_lo, exec_lo, s9
	s_cbranch_vccnz .LBB61_7
; %bb.2:
	s_clause 0x2
	s_load_dwordx4 s[20:23], s[4:5], 0x0
	s_load_dwordx8 s[12:19], s[4:5], 0x28
	s_load_dwordx2 s[4:5], s[4:5], 0x48
	s_load_dword s30, s[24:25], 0x4
	s_mul_i32 s9, s3, s8
	s_waitcnt lgkmcnt(0)
	s_mul_hi_u32 s15, s2, s8
	s_mul_i32 s26, s2, s8
	s_add_i32 s15, s15, s9
	s_add_u32 s9, s26, s10
	s_addc_u32 s15, s15, 0
	s_mul_hi_u32 s26, s0, s9
	s_mul_i32 s15, s0, s15
	s_mul_i32 s27, s1, s9
	s_add_i32 s15, s26, s15
	s_mul_i32 s26, s0, s9
	s_add_i32 s27, s15, s27
	v_lshlrev_b64 v[0:1], 2, v[2:3]
	s_lshl_b64 s[26:27], s[26:27], 2
	s_mov_b32 s9, s11
	v_lshlrev_b64 v[2:3], 1, v[2:3]
	s_add_u32 s15, s22, s26
	s_addc_u32 s22, s23, s27
	v_add_co_u32 v0, vcc_lo, s15, v0
	v_add_co_ci_u32_e64 v1, null, s22, v1, vcc_lo
	s_mul_i32 s15, s1, s30
	s_mul_hi_u32 s22, s0, s30
	s_mul_i32 s1, s2, s1
	s_mul_hi_u32 s26, s2, s0
	s_add_i32 s23, s22, s15
	s_add_i32 s1, s26, s1
	s_mul_i32 s15, s3, s0
	s_mul_i32 s22, s0, s30
	s_add_i32 s27, s1, s15
	v_cmp_gt_i64_e64 s1, s[6:7], s[8:9]
	s_mul_i32 s26, s2, s0
	s_lshl_b64 s[22:23], s[22:23], 2
	s_lshl_b64 s[26:27], s[26:27], 2
	s_sub_i32 s31, 0, s14
	s_branch .LBB61_4
.LBB61_3:                               ;   in Loop: Header=BB61_4 Depth=1
	s_inst_prefetch 0x2
	s_add_u32 s10, s10, s30
	s_addc_u32 s11, s11, 0
	v_add_co_u32 v0, vcc_lo, v0, s22
	v_cmp_ge_i64_e64 s0, s[10:11], s[2:3]
	v_add_co_ci_u32_e64 v1, null, s23, v1, vcc_lo
	s_and_b32 vcc_lo, exec_lo, s0
	s_cbranch_vccnz .LBB61_7
.LBB61_4:                               ; =>This Loop Header: Depth=1
                                        ;     Child Loop BB61_6 Depth 2
	s_andn2_b32 vcc_lo, exec_lo, s1
	s_cbranch_vccnz .LBB61_3
; %bb.5:                                ;   in Loop: Header=BB61_4 Depth=1
	s_load_dword s33, s[24:25], 0x8
	s_mul_i32 s0, s10, s17
	s_mul_hi_u32 s14, s10, s16
	s_mul_i32 s15, s11, s16
	s_add_i32 s0, s14, s0
	v_mov_b32_e32 v5, v1
	v_mov_b32_e32 v4, v0
	s_mul_i32 s14, s10, s16
	s_add_i32 s15, s0, s15
	s_lshl_b64 s[14:15], s[14:15], 1
	s_waitcnt lgkmcnt(0)
	s_mul_i32 s0, s27, s33
	s_mul_hi_u32 s28, s26, s33
	s_mul_i32 s34, s26, s33
	s_add_i32 s35, s28, s0
	s_mov_b64 s[28:29], s[8:9]
	s_inst_prefetch 0x1
	.p2align	6
.LBB61_6:                               ;   Parent Loop BB61_4 Depth=1
                                        ; =>  This Inner Loop Header: Depth=2
	s_mul_hi_u32 s0, s12, s28
	s_add_i32 s0, s28, s0
	s_lshr_b32 s0, s0, s13
	s_mul_i32 s37, s31, s0
	s_mul_i32 s38, s5, s0
	s_mul_hi_u32 s39, s4, s0
	s_mul_i32 s36, s4, s0
	s_add_i32 s0, s28, s37
	s_add_i32 s37, s39, s38
	s_mul_i32 s39, s19, s0
	s_mul_hi_u32 s40, s18, s0
	s_lshl_b64 s[36:37], s[36:37], 1
	s_mul_i32 s38, s18, s0
	s_add_i32 s39, s40, s39
	s_add_u32 s0, s20, s36
	s_addc_u32 s40, s21, s37
	s_lshl_b64 s[36:37], s[38:39], 1
	s_add_u32 s0, s0, s36
	s_addc_u32 s36, s40, s37
	s_add_u32 s0, s0, s14
	s_addc_u32 s36, s36, s15
	v_add_co_u32 v6, vcc_lo, s0, v2
	v_add_co_ci_u32_e64 v7, null, s36, v3, vcc_lo
	s_add_u32 s28, s28, s33
	s_addc_u32 s29, s29, 0
	global_load_ushort v6, v[6:7], off
	v_cmp_ge_i64_e64 s0, s[28:29], s[6:7]
	s_and_b32 vcc_lo, exec_lo, s0
	s_waitcnt vmcnt(0)
	v_lshlrev_b32_e32 v6, 16, v6
	global_store_dword v[4:5], v6, off
	v_add_co_u32 v4, s0, v4, s34
	v_add_co_ci_u32_e64 v5, null, s35, v5, s0
	s_cbranch_vccz .LBB61_6
	s_branch .LBB61_3
.LBB61_7:
	s_endpgm
	.section	.rodata,"a",@progbits
	.p2align	6, 0x0
	.amdhsa_kernel _ZL13convert_unaryI14__hip_bfloat16fEvPKvPT0_lll15HIP_vector_typeIjLj3EElll
		.amdhsa_group_segment_fixed_size 0
		.amdhsa_private_segment_fixed_size 0
		.amdhsa_kernarg_size 336
		.amdhsa_user_sgpr_count 6
		.amdhsa_user_sgpr_private_segment_buffer 1
		.amdhsa_user_sgpr_dispatch_ptr 0
		.amdhsa_user_sgpr_queue_ptr 0
		.amdhsa_user_sgpr_kernarg_segment_ptr 1
		.amdhsa_user_sgpr_dispatch_id 0
		.amdhsa_user_sgpr_flat_scratch_init 0
		.amdhsa_user_sgpr_private_segment_size 0
		.amdhsa_wavefront_size32 1
		.amdhsa_uses_dynamic_stack 0
		.amdhsa_system_sgpr_private_segment_wavefront_offset 0
		.amdhsa_system_sgpr_workgroup_id_x 1
		.amdhsa_system_sgpr_workgroup_id_y 1
		.amdhsa_system_sgpr_workgroup_id_z 1
		.amdhsa_system_sgpr_workgroup_info 0
		.amdhsa_system_vgpr_workitem_id 0
		.amdhsa_next_free_vgpr 8
		.amdhsa_next_free_sgpr 41
		.amdhsa_reserve_vcc 1
		.amdhsa_reserve_flat_scratch 0
		.amdhsa_float_round_mode_32 0
		.amdhsa_float_round_mode_16_64 0
		.amdhsa_float_denorm_mode_32 3
		.amdhsa_float_denorm_mode_16_64 3
		.amdhsa_dx10_clamp 1
		.amdhsa_ieee_mode 1
		.amdhsa_fp16_overflow 0
		.amdhsa_workgroup_processor_mode 1
		.amdhsa_memory_ordered 1
		.amdhsa_forward_progress 1
		.amdhsa_shared_vgpr_count 0
		.amdhsa_exception_fp_ieee_invalid_op 0
		.amdhsa_exception_fp_denorm_src 0
		.amdhsa_exception_fp_ieee_div_zero 0
		.amdhsa_exception_fp_ieee_overflow 0
		.amdhsa_exception_fp_ieee_underflow 0
		.amdhsa_exception_fp_ieee_inexact 0
		.amdhsa_exception_int_div_zero 0
	.end_amdhsa_kernel
	.section	.text._ZL13convert_unaryI14__hip_bfloat16fEvPKvPT0_lll15HIP_vector_typeIjLj3EElll,"axG",@progbits,_ZL13convert_unaryI14__hip_bfloat16fEvPKvPT0_lll15HIP_vector_typeIjLj3EElll,comdat
.Lfunc_end61:
	.size	_ZL13convert_unaryI14__hip_bfloat16fEvPKvPT0_lll15HIP_vector_typeIjLj3EElll, .Lfunc_end61-_ZL13convert_unaryI14__hip_bfloat16fEvPKvPT0_lll15HIP_vector_typeIjLj3EElll
                                        ; -- End function
	.set _ZL13convert_unaryI14__hip_bfloat16fEvPKvPT0_lll15HIP_vector_typeIjLj3EElll.num_vgpr, 8
	.set _ZL13convert_unaryI14__hip_bfloat16fEvPKvPT0_lll15HIP_vector_typeIjLj3EElll.num_agpr, 0
	.set _ZL13convert_unaryI14__hip_bfloat16fEvPKvPT0_lll15HIP_vector_typeIjLj3EElll.numbered_sgpr, 41
	.set _ZL13convert_unaryI14__hip_bfloat16fEvPKvPT0_lll15HIP_vector_typeIjLj3EElll.num_named_barrier, 0
	.set _ZL13convert_unaryI14__hip_bfloat16fEvPKvPT0_lll15HIP_vector_typeIjLj3EElll.private_seg_size, 0
	.set _ZL13convert_unaryI14__hip_bfloat16fEvPKvPT0_lll15HIP_vector_typeIjLj3EElll.uses_vcc, 1
	.set _ZL13convert_unaryI14__hip_bfloat16fEvPKvPT0_lll15HIP_vector_typeIjLj3EElll.uses_flat_scratch, 0
	.set _ZL13convert_unaryI14__hip_bfloat16fEvPKvPT0_lll15HIP_vector_typeIjLj3EElll.has_dyn_sized_stack, 0
	.set _ZL13convert_unaryI14__hip_bfloat16fEvPKvPT0_lll15HIP_vector_typeIjLj3EElll.has_recursion, 0
	.set _ZL13convert_unaryI14__hip_bfloat16fEvPKvPT0_lll15HIP_vector_typeIjLj3EElll.has_indirect_call, 0
	.section	.AMDGPU.csdata,"",@progbits
; Kernel info:
; codeLenInByte = 620
; TotalNumSgprs: 43
; NumVgprs: 8
; ScratchSize: 0
; MemoryBound: 0
; FloatMode: 240
; IeeeMode: 1
; LDSByteSize: 0 bytes/workgroup (compile time only)
; SGPRBlocks: 0
; VGPRBlocks: 0
; NumSGPRsForWavesPerEU: 43
; NumVGPRsForWavesPerEU: 8
; Occupancy: 16
; WaveLimiterHint : 0
; COMPUTE_PGM_RSRC2:SCRATCH_EN: 0
; COMPUTE_PGM_RSRC2:USER_SGPR: 6
; COMPUTE_PGM_RSRC2:TRAP_HANDLER: 0
; COMPUTE_PGM_RSRC2:TGID_X_EN: 1
; COMPUTE_PGM_RSRC2:TGID_Y_EN: 1
; COMPUTE_PGM_RSRC2:TGID_Z_EN: 1
; COMPUTE_PGM_RSRC2:TIDIG_COMP_CNT: 0
	.section	.AMDGPU.gpr_maximums,"",@progbits
	.set amdgpu.max_num_vgpr, 0
	.set amdgpu.max_num_agpr, 0
	.set amdgpu.max_num_sgpr, 0
	.section	.AMDGPU.csdata,"",@progbits
	.type	_ZL11iq2xxs_grid,@object        ; @_ZL11iq2xxs_grid
	.section	.rodata,"a",@progbits
	.p2align	4, 0x0
_ZL11iq2xxs_grid:
	.quad	578721382704613384              ; 0x808080808080808
	.quad	578721382704613419              ; 0x80808080808082b
	;; [unrolled: 1-line block ×132, first 2 shown]
	.quad	1803700481349388313             ; 0x1908080808080819
	.quad	1803700481349392648             ; 0x1908080808081908
	;; [unrolled: 1-line block ×124, first 2 shown]
	.size	_ZL11iq2xxs_grid, 2048

	.type	_ZL12ksigns_iq2xs,@object       ; @_ZL12ksigns_iq2xs
	.p2align	4, 0x0
_ZL12ksigns_iq2xs:
	.ascii	"\000\201\202\003\204\005\006\207\210\t\n\213\f\215\216\017\220\021\022\223\024\225\226\027\030\231\232\033\234\035\036\237\240!\"\243$\245\246'(\251\252+\254-.\2570\261\2623\26456\267\2709:\273<\275\276?\300AB\303D\305\306GH\311\312K\314MN\317P\321\322S\324UV\327\330YZ\333\\\335\336_`\341\342c\344ef\347\350ij\353l\355\356o\360qr\363t\365\366wx\371\372{\374}~\377"
	.size	_ZL12ksigns_iq2xs, 128

	.type	_ZL10iq2xs_grid,@object         ; @_ZL10iq2xs_grid
	.p2align	4, 0x0
_ZL10iq2xs_grid:
	.quad	578721382704613384              ; 0x808080808080808
	.quad	578721382704613419              ; 0x80808080808082b
	;; [unrolled: 1-line block ×254, first 2 shown]
	.quad	1803700481349388313             ; 0x1908080808080819
	.quad	1803700481349392648             ; 0x1908080808081908
	;; [unrolled: 1-line block ×258, first 2 shown]
	.size	_ZL10iq2xs_grid, 4096

	.type	_ZL9iq2s_grid,@object           ; @_ZL9iq2s_grid
	.p2align	4, 0x0
_ZL9iq2s_grid:
	.quad	578721382704613384              ; 0x808080808080808
	.quad	578721382704613419              ; 0x80808080808082b
	.quad	578721382704617753              ; 0x808080808081919
	.quad	578721382704622344              ; 0x808080808082b08
	.quad	578721382704622379              ; 0x808080808082b2b
	.quad	578721382705727513              ; 0x808080808190819
	.quad	578721382705731848              ; 0x808080808191908
	.quad	578721382705731883              ; 0x80808080819192b
	.quad	578721382705736473              ; 0x808080808192b19
	.quad	578721382706907144              ; 0x8080808082b0808
	.quad	578721382706907179              ; 0x8080808082b082b
	.quad	578721382706911513              ; 0x8080808082b1919
	.quad	578721382706916104              ; 0x8080808082b2b08
	.quad	578721382989826073              ; 0x808080819080819
	.quad	578721382989830408              ; 0x808080819081908
	.quad	578721382989830443              ; 0x80808081908192b
	.quad	578721382989835033              ; 0x808080819082b19
	.quad	578721382990940168              ; 0x808080819190808
	.quad	578721382990940203              ; 0x80808081919082b
	.quad	578721382990944537              ; 0x808080819191919
	.quad	578721382990949128              ; 0x808080819192b08
	.quad	578721382992119833              ; 0x8080808192b0819
	.quad	578721382992124168              ; 0x8080808192b1908
	.quad	578721382992124203              ; 0x8080808192b192b
	.quad	578721382992128793              ; 0x8080808192b2b19
	.quad	578721383291815944              ; 0x80808082b080808
	.quad	578721383291815979              ; 0x80808082b08082b
	.quad	578721383291820313              ; 0x80808082b081919
	.quad	578721383291824904              ; 0x80808082b082b08
	.quad	578721383292930073              ; 0x80808082b190819
	.quad	578721383292934408              ; 0x80808082b191908
	.quad	578721383294109704              ; 0x80808082b2b0808
	.quad	578721383294114073              ; 0x80808082b2b1919
	.quad	578721383294118699              ; 0x80808082b2b2b2b
	.quad	578721455719057433              ; 0x808081908080819
	.quad	578721455719061768              ; 0x808081908081908
	.quad	578721455719061803              ; 0x80808190808192b
	.quad	578721455719066393              ; 0x808081908082b19
	.quad	578721455720171528              ; 0x808081908190808
	.quad	578721455720171563              ; 0x80808190819082b
	.quad	578721455720175897              ; 0x808081908191919
	.quad	578721455720180488              ; 0x808081908192b08
	.quad	578721455721351193              ; 0x8080819082b0819
	.quad	578721455721355528              ; 0x8080819082b1908
	.quad	578721456004270088              ; 0x808081919080808
	.quad	578721456004270123              ; 0x80808191908082b
	.quad	578721456004274457              ; 0x808081919081919
	.quad	578721456004279048              ; 0x808081919082b08
	.quad	578721456005384217              ; 0x808081919190819
	.quad	578721456005388552              ; 0x808081919191908
	.quad	578721456005388587              ; 0x80808191919192b
	.quad	578721456005393177              ; 0x808081919192b19
	.quad	578721456006563848              ; 0x8080819192b0808
	.quad	578721456006568217              ; 0x8080819192b1919
	.quad	578721456006572808              ; 0x8080819192b2b08
	.quad	578721456306259993              ; 0x80808192b080819
	.quad	578721456306264328              ; 0x80808192b081908
	.quad	578721456307374088              ; 0x80808192b190808
	.quad	578721456307374123              ; 0x80808192b19082b
	.quad	578721456307378457              ; 0x80808192b191919
	.quad	578721456308553753              ; 0x80808192b2b0819
	.quad	578721456308558088              ; 0x80808192b2b1908
	.quad	578721533028468744              ; 0x808082b08080808
	.quad	578721533028468779              ; 0x808082b0808082b
	.quad	578721533028473113              ; 0x808082b08081919
	.quad	578721533028477704              ; 0x808082b08082b08
	.quad	578721533029582873              ; 0x808082b08190819
	.quad	578721533029587208              ; 0x808082b08191908
	.quad	578721533030762504              ; 0x808082b082b0808
	.quad	578721533030771499              ; 0x808082b082b2b2b
	.quad	578721533313681433              ; 0x808082b19080819
	.quad	578721533313685768              ; 0x808082b19081908
	.quad	578721533313685803              ; 0x808082b1908192b
	.quad	578721533313690393              ; 0x808082b19082b19
	.quad	578721533314795528              ; 0x808082b19190808
	.quad	578721533314799897              ; 0x808082b19191919
	.quad	578721533615671304              ; 0x808082b2b080808
	.quad	578721533615675673              ; 0x808082b2b081919
	.quad	578721533615680299              ; 0x808082b2b082b2b
	.quad	578721533616789768              ; 0x808082b2b191908
	.quad	578721533617965099              ; 0x808082b2b2b082b
	.quad	578740074402285593              ; 0x808190808080819
	.quad	578740074402289928              ; 0x808190808081908
	.quad	578740074402289963              ; 0x80819080808192b
	.quad	578740074402294553              ; 0x808190808082b19
	.quad	578740074403399688              ; 0x808190808190808
	.quad	578740074403399723              ; 0x80819080819082b
	.quad	578740074403404057              ; 0x808190808191919
	.quad	578740074403408648              ; 0x808190808192b08
	.quad	578740074404579353              ; 0x8081908082b0819
	.quad	578740074404583688              ; 0x8081908082b1908
	.quad	578740074404583723              ; 0x8081908082b192b
	.quad	578740074404588313              ; 0x8081908082b2b19
	.quad	578740074687498248              ; 0x808190819080808
	.quad	578740074687498283              ; 0x80819081908082b
	.quad	578740074687502617              ; 0x808190819081919
	.quad	578740074687507208              ; 0x808190819082b08
	.quad	578740074687507243              ; 0x808190819082b2b
	.quad	578740074688612377              ; 0x808190819190819
	.quad	578740074688616712              ; 0x808190819191908
	.quad	578740074688616747              ; 0x80819081919192b
	.quad	578740074688621337              ; 0x808190819192b19
	.quad	578740074689792008              ; 0x8081908192b0808
	.quad	578740074689792043              ; 0x8081908192b082b
	.quad	578740074689796377              ; 0x8081908192b1919
	.quad	578740074989488153              ; 0x80819082b080819
	.quad	578740074989492488              ; 0x80819082b081908
	.quad	578740074989492523              ; 0x80819082b08192b
	.quad	578740074989497113              ; 0x80819082b082b19
	.quad	578740074990602248              ; 0x80819082b190808
	.quad	578740074990606617              ; 0x80819082b191919
	.quad	578740074990611208              ; 0x80819082b192b08
	.quad	578740074991781913              ; 0x80819082b2b0819
	.quad	578740074991786248              ; 0x80819082b2b1908
	.quad	578740147416729608              ; 0x808191908080808
	.quad	578740147416729643              ; 0x80819190808082b
	.quad	578740147416733977              ; 0x808191908081919
	.quad	578740147416738568              ; 0x808191908082b08
	.quad	578740147416738603              ; 0x808191908082b2b
	.quad	578740147417843737              ; 0x808191908190819
	.quad	578740147417848072              ; 0x808191908191908
	.quad	578740147417848107              ; 0x80819190819192b
	.quad	578740147417852697              ; 0x808191908192b19
	.quad	578740147419023368              ; 0x8081919082b0808
	.quad	578740147419027737              ; 0x8081919082b1919
	.quad	578740147419032328              ; 0x8081919082b2b08
	.quad	578740147701942297              ; 0x808191919080819
	.quad	578740147701946632              ; 0x808191919081908
	.quad	578740147701946667              ; 0x80819191908192b
	.quad	578740147701951257              ; 0x808191919082b19
	.quad	578740147703056392              ; 0x808191919190808
	.quad	578740147703056427              ; 0x80819191919082b
	.quad	578740147703060761              ; 0x808191919191919
	.quad	578740147703065352              ; 0x808191919192b08
	.quad	578740147704236057              ; 0x8081919192b0819
	.quad	578740147704240392              ; 0x8081919192b1908
	.quad	578740148003932168              ; 0x80819192b080808
	.quad	578740148003932203              ; 0x80819192b08082b
	.quad	578740148003936537              ; 0x80819192b081919
	.quad	578740148003941128              ; 0x80819192b082b08
	.quad	578740148005046297              ; 0x80819192b190819
	.quad	578740148005050632              ; 0x80819192b191908
	.quad	578740148006225928              ; 0x80819192b2b0808
	.quad	578740224726140953              ; 0x808192b08080819
	.quad	578740224726145288              ; 0x808192b08081908
	.quad	578740224726145323              ; 0x808192b0808192b
	.quad	578740224726149913              ; 0x808192b08082b19
	.quad	578740224727255048              ; 0x808192b08190808
	.quad	578740224727259417              ; 0x808192b08191919
	.quad	578740225011353608              ; 0x808192b19080808
	.quad	578740225011357977              ; 0x808192b19081919
	.quad	578740225011362568              ; 0x808192b19082b08
	.quad	578740225012467737              ; 0x808192b19190819
	.quad	578740225012472072              ; 0x808192b19191908
	.quad	578740225013647368              ; 0x808192b192b0808
	.quad	578740225313343513              ; 0x808192b2b080819
	.quad	578740225313347848              ; 0x808192b2b081908
	.quad	578740225314457608              ; 0x808192b2b190808
	.quad	578759865611585544              ; 0x8082b0808080808
	.quad	578759865611585579              ; 0x8082b080808082b
	.quad	578759865611589913              ; 0x8082b0808081919
	.quad	578759865611594504              ; 0x8082b0808082b08
	.quad	578759865612699673              ; 0x8082b0808190819
	.quad	578759865612704008              ; 0x8082b0808191908
	.quad	578759865612704043              ; 0x8082b080819192b
	.quad	578759865612708633              ; 0x8082b0808192b19
	.quad	578759865613879304              ; 0x8082b08082b0808
	.quad	578759865613883673              ; 0x8082b08082b1919
	.quad	578759865613888299              ; 0x8082b08082b2b2b
	.quad	578759865896798233              ; 0x8082b0819080819
	.quad	578759865896802568              ; 0x8082b0819081908
	.quad	578759865896802603              ; 0x8082b081908192b
	.quad	578759865896807193              ; 0x8082b0819082b19
	.quad	578759865897912328              ; 0x8082b0819190808
	.quad	578759865897912363              ; 0x8082b081919082b
	.quad	578759865897916697              ; 0x8082b0819191919
	.quad	578759865897921288              ; 0x8082b0819192b08
	.quad	578759865899091993              ; 0x8082b08192b0819
	.quad	578759865899096328              ; 0x8082b08192b1908
	.quad	578759866198788104              ; 0x8082b082b080808
	.quad	578759866198792473              ; 0x8082b082b081919
	.quad	578759866199906568              ; 0x8082b082b191908
	.quad	578759866201090859              ; 0x8082b082b2b2b2b
	.quad	578759938626029593              ; 0x8082b1908080819
	.quad	578759938626033928              ; 0x8082b1908081908
	.quad	578759938627143688              ; 0x8082b1908190808
	.quad	578759938627143723              ; 0x8082b190819082b
	.quad	578759938627148057              ; 0x8082b1908191919
	.quad	578759938627152648              ; 0x8082b1908192b08
	.quad	578759938628323353              ; 0x8082b19082b0819
	.quad	578759938911242248              ; 0x8082b1919080808
	.quad	578759938911246617              ; 0x8082b1919081919
	.quad	578759938911251208              ; 0x8082b1919082b08
	.quad	578759938912356377              ; 0x8082b1919190819
	.quad	578759938912360712              ; 0x8082b1919191908
	.quad	578759938913536008              ; 0x8082b19192b0808
	.quad	578759939213232153              ; 0x8082b192b080819
	.quad	578759939214346248              ; 0x8082b192b190808
	.quad	578760015935440904              ; 0x8082b2b08080808
	.quad	578760015936555033              ; 0x8082b2b08190819
	.quad	578760015936559368              ; 0x8082b2b08191908
	.quad	578760015937734699              ; 0x8082b2b082b082b
	.quad	578760015937743624              ; 0x8082b2b082b2b08
	.quad	578760015937743659              ; 0x8082b2b082b2b2b
	.quad	578760016221767688              ; 0x8082b2b19190808
	.quad	578760016523766553              ; 0x8082b2b2b192b19
	.quad	583506457308694553              ; 0x819080808080819
	.quad	583506457308698888              ; 0x819080808081908
	.quad	583506457308698923              ; 0x81908080808192b
	.quad	583506457308703513              ; 0x819080808082b19
	.quad	583506457309808648              ; 0x819080808190808
	.quad	583506457309808683              ; 0x81908080819082b
	.quad	583506457309813017              ; 0x819080808191919
	.quad	583506457309817608              ; 0x819080808192b08
	.quad	583506457310988313              ; 0x8190808082b0819
	.quad	583506457310992648              ; 0x8190808082b1908
	.quad	583506457310992683              ; 0x8190808082b192b
	.quad	583506457593907208              ; 0x819080819080808
	.quad	583506457593907243              ; 0x81908081908082b
	.quad	583506457593911577              ; 0x819080819081919
	.quad	583506457593916168              ; 0x819080819082b08
	.quad	583506457595021337              ; 0x819080819190819
	.quad	583506457595025672              ; 0x819080819191908
	.quad	583506457595025707              ; 0x81908081919192b
	.quad	583506457595030297              ; 0x819080819192b19
	.quad	583506457596200968              ; 0x8190808192b0808
	.quad	583506457596201003              ; 0x8190808192b082b
	.quad	583506457596205337              ; 0x8190808192b1919
	.quad	583506457596209928              ; 0x8190808192b2b08
	.quad	583506457895897113              ; 0x81908082b080819
	.quad	583506457895901448              ; 0x81908082b081908
	.quad	583506457895901483              ; 0x81908082b08192b
	.quad	583506457897011208              ; 0x81908082b190808
	.quad	583506457897015577              ; 0x81908082b191919
	.quad	583506457897020168              ; 0x81908082b192b08
	.quad	583506457898190873              ; 0x81908082b2b0819
	.quad	583506457898195208              ; 0x81908082b2b1908
	.quad	583506530323138568              ; 0x819081908080808
	.quad	583506530323138603              ; 0x81908190808082b
	.quad	583506530323142937              ; 0x819081908081919
	.quad	583506530323147528              ; 0x819081908082b08
	.quad	583506530323147563              ; 0x819081908082b2b
	.quad	583506530324252697              ; 0x819081908190819
	.quad	583506530324257032              ; 0x819081908191908
	.quad	583506530324257067              ; 0x81908190819192b
	.quad	583506530324261657              ; 0x819081908192b19
	.quad	583506530325432328              ; 0x8190819082b0808
	.quad	583506530325432363              ; 0x8190819082b082b
	.quad	583506530325436697              ; 0x8190819082b1919
	.quad	583506530325441288              ; 0x8190819082b2b08
	.quad	583506530608351257              ; 0x819081919080819
	.quad	583506530608355592              ; 0x819081919081908
	.quad	583506530608355627              ; 0x81908191908192b
	.quad	583506530608360217              ; 0x819081919082b19
	.quad	583506530609465352              ; 0x819081919190808
	.quad	583506530609465387              ; 0x81908191919082b
	.quad	583506530609469721              ; 0x819081919191919
	.quad	583506530609474312              ; 0x819081919192b08
	.quad	583506530610645017              ; 0x8190819192b0819
	.quad	583506530610649352              ; 0x8190819192b1908
	.quad	583506530910341128              ; 0x81908192b080808
	.quad	583506530910341163              ; 0x81908192b08082b
	.quad	583506530910345497              ; 0x81908192b081919
	.quad	583506530910350088              ; 0x81908192b082b08
	.quad	583506530911455257              ; 0x81908192b190819
	.quad	583506530911459592              ; 0x81908192b191908
	.quad	583506607632549913              ; 0x819082b08080819
	.quad	583506607632554248              ; 0x819082b08081908
	.quad	583506607632558873              ; 0x819082b08082b19
	.quad	583506607633664008              ; 0x819082b08190808
	.quad	583506607633668377              ; 0x819082b08191919
	.quad	583506607634843673              ; 0x819082b082b0819
	.quad	583506607634848008              ; 0x819082b082b1908
	.quad	583506607917762568              ; 0x819082b19080808
	.quad	583506607917766937              ; 0x819082b19081919
	.quad	583506607918876697              ; 0x819082b19190819
	.quad	583506607918881032              ; 0x819082b19191908
	.quad	583506608219752473              ; 0x819082b2b080819
	.quad	583506608219756808              ; 0x819082b2b081908
	.quad	583506608220866568              ; 0x819082b2b190808
	.quad	583525149006366728              ; 0x819190808080808
	.quad	583525149006366763              ; 0x81919080808082b
	.quad	583525149006371097              ; 0x819190808081919
	.quad	583525149006375688              ; 0x819190808082b08
	.quad	583525149007480857              ; 0x819190808190819
	.quad	583525149007485192              ; 0x819190808191908
	.quad	583525149007485227              ; 0x81919080819192b
	.quad	583525149007489817              ; 0x819190808192b19
	.quad	583525149008660488              ; 0x8191908082b0808
	.quad	583525149008664857              ; 0x8191908082b1919
	.quad	583525149008669448              ; 0x8191908082b2b08
	.quad	583525149291579417              ; 0x819190819080819
	.quad	583525149291583752              ; 0x819190819081908
	.quad	583525149291583787              ; 0x81919081908192b
	.quad	583525149291588377              ; 0x819190819082b19
	.quad	583525149292693512              ; 0x819190819190808
	.quad	583525149292693547              ; 0x81919081919082b
	.quad	583525149292697881              ; 0x819190819191919
	.quad	583525149292702472              ; 0x819190819192b08
	.quad	583525149293873177              ; 0x8191908192b0819
	.quad	583525149293877512              ; 0x8191908192b1908
	.quad	583525149593569288              ; 0x81919082b080808
	.quad	583525149593569323              ; 0x81919082b08082b
	.quad	583525149593573657              ; 0x81919082b081919
	.quad	583525149593578248              ; 0x81919082b082b08
	.quad	583525149594683417              ; 0x81919082b190819
	.quad	583525149594687752              ; 0x81919082b191908
	.quad	583525149595863048              ; 0x81919082b2b0808
	.quad	583525222020810777              ; 0x819191908080819
	.quad	583525222020815112              ; 0x819191908081908
	.quad	583525222020815147              ; 0x81919190808192b
	.quad	583525222020819737              ; 0x819191908082b19
	.quad	583525222021924872              ; 0x819191908190808
	.quad	583525222021924907              ; 0x81919190819082b
	.quad	583525222021929241              ; 0x819191908191919
	.quad	583525222021933832              ; 0x819191908192b08
	.quad	583525222023104537              ; 0x8191919082b0819
	.quad	583525222023108872              ; 0x8191919082b1908
	.quad	583525222306023432              ; 0x819191919080808
	.quad	583525222306023467              ; 0x81919191908082b
	.quad	583525222306027801              ; 0x819191919081919
	.quad	583525222306032392              ; 0x819191919082b08
	.quad	583525222307137561              ; 0x819191919190819
	.quad	583525222307141896              ; 0x819191919191908
	.quad	583525222308317192              ; 0x8191919192b0808
	.quad	583525222608013337              ; 0x81919192b080819
	.quad	583525222608017672              ; 0x81919192b081908
	.quad	583525222609127432              ; 0x81919192b190808
	.quad	583525299330222088              ; 0x819192b08080808
	.quad	583525299330226457              ; 0x819192b08081919
	.quad	583525299330231048              ; 0x819192b08082b08
	.quad	583525299331336217              ; 0x819192b08190819
	.quad	583525299331340552              ; 0x819192b08191908
	.quad	583525299332515848              ; 0x819192b082b0808
	.quad	583525299615434777              ; 0x819192b19080819
	.quad	583525299615439112              ; 0x819192b19081908
	.quad	583525299616548872              ; 0x819192b19190808
	.quad	583525299917424648              ; 0x819192b2b080808
	.quad	583525299919727403              ; 0x819192b2b2b2b2b
	.quad	583544940215666713              ; 0x8192b0808080819
	.quad	583544940215671048              ; 0x8192b0808081908
	.quad	583544940215671083              ; 0x8192b080808192b
	.quad	583544940215675673              ; 0x8192b0808082b19
	.quad	583544940216780808              ; 0x8192b0808190808
	.quad	583544940216785177              ; 0x8192b0808191919
	.quad	583544940216789768              ; 0x8192b0808192b08
	.quad	583544940217960473              ; 0x8192b08082b0819
	.quad	583544940500879368              ; 0x8192b0819080808
	.quad	583544940500879403              ; 0x8192b081908082b
	.quad	583544940500883737              ; 0x8192b0819081919
	.quad	583544940500888328              ; 0x8192b0819082b08
	.quad	583544940501993497              ; 0x8192b0819190819
	.quad	583544940501997832              ; 0x8192b0819191908
	.quad	583544940503173128              ; 0x8192b08192b0808
	.quad	583544940802869273              ; 0x8192b082b080819
	.quad	583544940802873608              ; 0x8192b082b081908
	.quad	583545013230110728              ; 0x8192b1908080808
	.quad	583545013230110763              ; 0x8192b190808082b
	.quad	583545013230115097              ; 0x8192b1908081919
	.quad	583545013230119688              ; 0x8192b1908082b08
	.quad	583545013231224857              ; 0x8192b1908190819
	.quad	583545013231229192              ; 0x8192b1908191908
	.quad	583545013232404488              ; 0x8192b19082b0808
	.quad	583545013515323417              ; 0x8192b1919080819
	.quad	583545013515327752              ; 0x8192b1919081908
	.quad	583545013516437512              ; 0x8192b1919190808
	.quad	583545013517626137              ; 0x8192b19192b2b19
	.quad	583545013819607083              ; 0x8192b192b2b082b
	.quad	583545090539526408              ; 0x8192b2b08081908
	.quad	583545090540636168              ; 0x8192b2b08190808
	.quad	583545090824734728              ; 0x8192b2b19080808
	.quad	583545090825853227              ; 0x8192b2b1919192b
	.quad	588573006889486344              ; 0x82b080808080808
	.quad	588573006889486379              ; 0x82b08080808082b
	.quad	588573006889490713              ; 0x82b080808081919
	.quad	588573006889495304              ; 0x82b080808082b08
	.quad	588573006890600473              ; 0x82b080808190819
	.quad	588573006890604808              ; 0x82b080808191908
	.quad	588573006890604843              ; 0x82b08080819192b
	.quad	588573006890609433              ; 0x82b080808192b19
	.quad	588573006891780104              ; 0x82b0808082b0808
	.quad	588573006891784473              ; 0x82b0808082b1919
	.quad	588573006891789099              ; 0x82b0808082b2b2b
	.quad	588573007174699033              ; 0x82b080819080819
	.quad	588573007174703368              ; 0x82b080819081908
	.quad	588573007175813128              ; 0x82b080819190808
	.quad	588573007175813163              ; 0x82b08081919082b
	.quad	588573007175817497              ; 0x82b080819191919
	.quad	588573007176997128              ; 0x82b0808192b1908
	.quad	588573007476688904              ; 0x82b08082b080808
	.quad	588573007476697899              ; 0x82b08082b082b2b
	.quad	588573007477807368              ; 0x82b08082b191908
	.quad	588573007478991659              ; 0x82b08082b2b2b2b
	.quad	588573079903930393              ; 0x82b081908080819
	.quad	588573079903934728              ; 0x82b081908081908
	.quad	588573079905044488              ; 0x82b081908190808
	.quad	588573079905044523              ; 0x82b08190819082b
	.quad	588573079905048857              ; 0x82b081908191919
	.quad	588573079906224153              ; 0x82b0819082b0819
	.quad	588573080189143048              ; 0x82b081919080808
	.quad	588573080189143083              ; 0x82b08191908082b
	.quad	588573080189147417              ; 0x82b081919081919
	.quad	588573080190257177              ; 0x82b081919190819
	.quad	588573080190261512              ; 0x82b081919191908
	.quad	588573080191436808              ; 0x82b0819192b0808
	.quad	588573080491132953              ; 0x82b08192b080819
	.quad	588573080491137288              ; 0x82b08192b081908
	.quad	588573080492247048              ; 0x82b08192b190808
	.quad	588573157213341704              ; 0x82b082b08080808
	.quad	588573157213350699              ; 0x82b082b08082b2b
	.quad	588573157215635499              ; 0x82b082b082b082b
	.quad	588573157215644424              ; 0x82b082b082b2b08
	.quad	588573157215644459              ; 0x82b082b082b2b2b
	.quad	588573157498558728              ; 0x82b082b19081908
	.quad	588573157499668488              ; 0x82b082b19190808
	.quad	588573157800553224              ; 0x82b082b2b082b08
	.quad	588573157800553259              ; 0x82b082b2b082b2b
	.quad	588573157802846984              ; 0x82b082b2b2b2b08
	.quad	588591698587158553              ; 0x82b190808080819
	.quad	588591698587162888              ; 0x82b190808081908
	.quad	588591698587162923              ; 0x82b19080808192b
	.quad	588591698587167513              ; 0x82b190808082b19
	.quad	588591698588272648              ; 0x82b190808190808
	.quad	588591698588277017              ; 0x82b190808191919
	.quad	588591698588281608              ; 0x82b190808192b08
	.quad	588591698589452313              ; 0x82b1908082b0819
	.quad	588591698589456648              ; 0x82b1908082b1908
	.quad	588591698872371208              ; 0x82b190819080808
	.quad	588591698872371243              ; 0x82b19081908082b
	.quad	588591698872375577              ; 0x82b190819081919
	.quad	588591698872380168              ; 0x82b190819082b08
	.quad	588591698873485337              ; 0x82b190819190819
	.quad	588591698873489672              ; 0x82b190819191908
	.quad	588591698874664968              ; 0x82b1908192b0808
	.quad	588591699174361113              ; 0x82b19082b080819
	.quad	588591699174365448              ; 0x82b19082b081908
	.quad	588591699175475208              ; 0x82b19082b190808
	.quad	588591771601602568              ; 0x82b191908080808
	.quad	588591771601606937              ; 0x82b191908081919
	.quad	588591771601611528              ; 0x82b191908082b08
	.quad	588591771602716697              ; 0x82b191908190819
	.quad	588591771602721032              ; 0x82b191908191908
	.quad	588591771603896328              ; 0x82b1919082b0808
	.quad	588591771886815257              ; 0x82b191919080819
	.quad	588591771886819592              ; 0x82b191919081908
	.quad	588591771887929352              ; 0x82b191919190808
	.quad	588591771889113387              ; 0x82b1919192b192b
	.quad	588591772188805128              ; 0x82b19192b080808
	.quad	588591848911013913              ; 0x82b192b08080819
	.quad	588591848911018248              ; 0x82b192b08081908
	.quad	588591848912128008              ; 0x82b192b08190808
	.quad	588591849196226568              ; 0x82b192b19080808
	.quad	588591849197349657              ; 0x82b192b19192b19
	.quad	588611489796458504              ; 0x82b2b0808080808
	.quad	588611489796462873              ; 0x82b2b0808081919
	.quad	588611489797572633              ; 0x82b2b0808190819
	.quad	588611489797576968              ; 0x82b2b0808191908
	.quad	588611490081671193              ; 0x82b2b0819080819
	.quad	588611490081675528              ; 0x82b2b0819081908
	.quad	588611490082785288              ; 0x82b2b0819190808
	.quad	588611490383670059              ; 0x82b2b082b082b2b
	.quad	588611490385963819              ; 0x82b2b082b2b2b2b
	.quad	588611562810902553              ; 0x82b2b1908080819
	.quad	588611562810906888              ; 0x82b2b1908081908
	.quad	588611562812016648              ; 0x82b2b1908190808
	.quad	588611563399223577              ; 0x82b2b192b191919
	.quad	588611640120322859              ; 0x82b2b2b08082b2b
	.quad	588611640122607659              ; 0x82b2b2b082b082b
	.quad	588611640407824648              ; 0x82b2b2b192b1908
	.quad	588611640707525384              ; 0x82b2b2b2b082b08
	.quad	588611640707525419              ; 0x82b2b2b2b082b2b
	.quad	1803700481349388313             ; 0x1908080808080819
	.quad	1803700481349392648             ; 0x1908080808081908
	;; [unrolled: 1-line block ×553, first 2 shown]
	.size	_ZL9iq2s_grid, 8192

	.type	_ZL11iq3xxs_grid,@object        ; @_ZL11iq3xxs_grid
	.p2align	4, 0x0
_ZL11iq3xxs_grid:
	.long	67372036                        ; 0x4040404
	.long	67372052                        ; 0x4040414
	;; [unrolled: 1-line block ×58, first 2 shown]
	.long	201589772                       ; 0xc04040c
	.long	201589788                       ; 0xc04041c
	;; [unrolled: 1-line block ×177, first 2 shown]
	.long	1040450588                      ; 0x3e04041c
	.long	1040450604                      ; 0x3e04042c
	;; [unrolled: 1-line block ×21, first 2 shown]
	.size	_ZL11iq3xxs_grid, 1024

	.type	_ZL13iq1s_grid_gpu,@object      ; @_ZL13iq1s_grid_gpu
	.p2align	4, 0x0
_ZL13iq1s_grid_gpu:
	.long	0                               ; 0x0
	.long	2                               ; 0x2
	.long	257                             ; 0x101
	.long	512                             ; 0x200
	;; [unrolled: 1-line block ×3, first 2 shown]
	.long	65537                           ; 0x10001
	.long	65793                           ; 0x10101
	.long	131072                          ; 0x20000
	.long	131074                          ; 0x20002
	;; [unrolled: 1-line block ×4, first 2 shown]
	.long	16777473                        ; 0x1000101
	.long	16842753                        ; 0x1010001
	;; [unrolled: 1-line block ×14, first 2 shown]
	.long	272                             ; 0x110
	.long	273                             ; 0x111
	.long	65553                           ; 0x10011
	.long	65808                           ; 0x10110
	.long	65810                           ; 0x10112
	.long	66065                           ; 0x10211
	.long	66066                           ; 0x10212
	.long	131345                          ; 0x20111
	.long	16777233                        ; 0x1000011
	.long	16777490                        ; 0x1000112
	;; [unrolled: 1-line block ×15, first 2 shown]
	.long	32                              ; 0x20
	.long	34                              ; 0x22
	.long	544                             ; 0x220
	.long	546                             ; 0x222
	.long	65825                           ; 0x10121
	.long	131104                          ; 0x20020
	.long	131106                          ; 0x20022
	;; [unrolled: 1-line block ×4, first 2 shown]
	.long	16777505                        ; 0x1000121
	.long	16842785                        ; 0x1010021
	;; [unrolled: 1-line block ×16, first 2 shown]
	.long	69633                           ; 0x11001
	.long	69888                           ; 0x11100
	;; [unrolled: 1-line block ×3, first 2 shown]
	.long	135425                          ; 0x21101
	.long	16781313                        ; 0x1001001
	.long	16781825                        ; 0x1001201
	;; [unrolled: 1-line block ×9, first 2 shown]
	.long	4113                            ; 0x1011
	.long	4368                            ; 0x1110
	;; [unrolled: 1-line block ×4, first 2 shown]
	.long	69905                           ; 0x11111
	.long	70160                           ; 0x11210
	;; [unrolled: 1-line block ×3, first 2 shown]
	.long	135697                          ; 0x21211
	.long	16781328                        ; 0x1001010
	.long	16781585                        ; 0x1001111
	;; [unrolled: 1-line block ×24, first 2 shown]
	.long	69920                           ; 0x11120
	.long	70177                           ; 0x11221
	.long	16781345                        ; 0x1001021
	.long	16781600                        ; 0x1001120
	;; [unrolled: 1-line block ×14, first 2 shown]
	.long	8192                            ; 0x2000
	.long	8194                            ; 0x2002
	;; [unrolled: 1-line block ×4, first 2 shown]
	.long	73985                           ; 0x12101
	.long	139264                          ; 0x22000
	.long	139266                          ; 0x22002
	;; [unrolled: 1-line block ×4, first 2 shown]
	.long	16785665                        ; 0x1002101
	.long	16850945                        ; 0x1012001
	;; [unrolled: 1-line block ×13, first 2 shown]
	.long	8465                            ; 0x2111
	.long	73745                           ; 0x12011
	.long	74000                           ; 0x12110
	.long	74257                           ; 0x12211
	.long	139536                          ; 0x22110
	.long	139537                          ; 0x22111
	.long	16785425                        ; 0x1002011
	.long	16850960                        ; 0x1012010
	;; [unrolled: 1-line block ×12, first 2 shown]
	.long	8224                            ; 0x2020
	.long	8226                            ; 0x2022
	;; [unrolled: 1-line block ×4, first 2 shown]
	.long	74017                           ; 0x12121
	.long	139296                          ; 0x22020
	.long	139298                          ; 0x22022
	.long	139808                          ; 0x22220
	.long	139810                          ; 0x22222
	.long	16785697                        ; 0x1002121
	.long	16850977                        ; 0x1012021
	;; [unrolled: 1-line block ×15, first 2 shown]
	.long	1114112                         ; 0x110000
	.long	1114113                         ; 0x110001
	;; [unrolled: 1-line block ×6, first 2 shown]
	.long	17825793                        ; 0x1100001
	.long	17826048                        ; 0x1100100
	.long	17891328                        ; 0x1110000
	.long	17891585                        ; 0x1110101
	.long	17891840                        ; 0x1110200
	.long	17956865                        ; 0x1120001
	.long	17957120                        ; 0x1120100
	.long	17957121                        ; 0x1120101
	.long	17957377                        ; 0x1120201
	.long	34668545                        ; 0x2110001
	.long	34668800                        ; 0x2110100
	.long	34668802                        ; 0x2110102
	.long	34734081                        ; 0x2120001
	.long	34734337                        ; 0x2120101
	.long	1048593                         ; 0x100011
	.long	1048848                         ; 0x100110
	;; [unrolled: 1-line block ×11, first 2 shown]
	.long	17826065                        ; 0x1100111
	.long	17826322                        ; 0x1100212
	;; [unrolled: 1-line block ×16, first 2 shown]
	.long	1114145                         ; 0x110021
	.long	1114400                         ; 0x110120
	;; [unrolled: 1-line block ×4, first 2 shown]
	.long	17825824                        ; 0x1100020
	.long	17826082                        ; 0x1100122
	;; [unrolled: 1-line block ×14, first 2 shown]
	.long	1052673                         ; 0x101001
	.long	1052930                         ; 0x101102
	;; [unrolled: 1-line block ×9, first 2 shown]
	.long	17829889                        ; 0x1101001
	.long	17830145                        ; 0x1101101
	;; [unrolled: 1-line block ×25, first 2 shown]
	.long	1052690                         ; 0x101012
	.long	1052945                         ; 0x101111
	;; [unrolled: 1-line block ×13, first 2 shown]
	.long	17829905                        ; 0x1101011
	.long	17830160                        ; 0x1101110
	;; [unrolled: 1-line block ×32, first 2 shown]
	.long	1052705                         ; 0x101021
	.long	1052960                         ; 0x101120
	.long	1052961                         ; 0x101121
	.long	1052962                         ; 0x101122
	.long	1118497                         ; 0x111121
	.long	1118498                         ; 0x111122
	.long	1118752                         ; 0x111220
	.long	1118754                         ; 0x111222
	.long	1183777                         ; 0x121021
	.long	1184034                         ; 0x121122
	.long	17829920                        ; 0x1101020
	.long	17829922                        ; 0x1101022
	;; [unrolled: 1-line block ×23, first 2 shown]
	.long	1122305                         ; 0x112001
	.long	1122562                         ; 0x112102
	;; [unrolled: 1-line block ×3, first 2 shown]
	.long	17833985                        ; 0x1102001
	.long	17834240                        ; 0x1102100
	;; [unrolled: 1-line block ×17, first 2 shown]
	.long	1122320                         ; 0x112010
	.long	1122322                         ; 0x112012
	;; [unrolled: 1-line block ×6, first 2 shown]
	.long	17834002                        ; 0x1102012
	.long	17834256                        ; 0x1102110
	;; [unrolled: 1-line block ×21, first 2 shown]
	.long	1057313                         ; 0x102221
	.long	1122594                         ; 0x112122
	;; [unrolled: 1-line block ×4, first 2 shown]
	.long	17834272                        ; 0x1102120
	.long	17834274                        ; 0x1102122
	;; [unrolled: 1-line block ×14, first 2 shown]
	.long	2097152                         ; 0x200000
	.long	2097154                         ; 0x200002
	;; [unrolled: 1-line block ×10, first 2 shown]
	.long	18874625                        ; 0x1200101
	.long	18939905                        ; 0x1210001
	;; [unrolled: 1-line block ×15, first 2 shown]
	.long	2097425                         ; 0x200111
	.long	2162705                         ; 0x210011
	;; [unrolled: 1-line block ×5, first 2 shown]
	.long	18874386                        ; 0x1200012
	.long	18874640                        ; 0x1200110
	;; [unrolled: 1-line block ×15, first 2 shown]
	.long	2097185                         ; 0x200021
	.long	2097696                         ; 0x200220
	;; [unrolled: 1-line block ×9, first 2 shown]
	.long	18874657                        ; 0x1200121
	.long	18939937                        ; 0x1210021
	;; [unrolled: 1-line block ×14, first 2 shown]
	.long	2101505                         ; 0x201101
	.long	2167040                         ; 0x211100
	;; [unrolled: 1-line block ×5, first 2 shown]
	.long	18878720                        ; 0x1201100
	.long	18878721                        ; 0x1201101
	;; [unrolled: 1-line block ×15, first 2 shown]
	.long	2101777                         ; 0x201211
	.long	2167057                         ; 0x211111
	;; [unrolled: 1-line block ×4, first 2 shown]
	.long	18878480                        ; 0x1201010
	.long	18878737                        ; 0x1201111
	;; [unrolled: 1-line block ×20, first 2 shown]
	.long	2101537                         ; 0x201121
	.long	2166816                         ; 0x211020
	;; [unrolled: 1-line block ×5, first 2 shown]
	.long	18878497                        ; 0x1201021
	.long	18879009                        ; 0x1201221
	;; [unrolled: 1-line block ×10, first 2 shown]
	.long	2105344                         ; 0x202000
	.long	2105346                         ; 0x202002
	;; [unrolled: 1-line block ×9, first 2 shown]
	.long	18882817                        ; 0x1202101
	.long	18948097                        ; 0x1212001
	;; [unrolled: 1-line block ×12, first 2 shown]
	.long	2105873                         ; 0x202211
	.long	2170897                         ; 0x212011
	;; [unrolled: 1-line block ×5, first 2 shown]
	.long	18882834                        ; 0x1202112
	.long	18883089                        ; 0x1202211
	;; [unrolled: 1-line block ×14, first 2 shown]
	.long	2105376                         ; 0x202020
	.long	2105378                         ; 0x202022
	;; [unrolled: 1-line block ×8, first 2 shown]
	.long	18882849                        ; 0x1202121
	.long	18948129                        ; 0x1212021
	.long	18948386                        ; 0x1212122
	.long	18948641                        ; 0x1212221
	.long	19013921                        ; 0x1222121
	.long	35659808                        ; 0x2202020
	.long	35659810                        ; 0x2202022
	.long	35660320                        ; 0x2202220
	.long	35660322                        ; 0x2202222
	.long	35725601                        ; 0x2212121
	.long	35790880                        ; 0x2222020
	.long	35790882                        ; 0x2222022
	.long	35791392                        ; 0x2222220
	.long	35791394                        ; 0x2222222
	.long	268435713                       ; 0x10000101
	.long	268500993                       ; 0x10010001
	;; [unrolled: 1-line block ×1419, first 2 shown]
	.size	_ZL13iq1s_grid_gpu, 8192

	.type	_ZL13kvalues_iq4nl,@object      ; @_ZL13kvalues_iq4nl
	.section	.rodata.cst16,"aM",@progbits,16
	.p2align	4, 0x0
_ZL13kvalues_iq4nl:
	.ascii	"\201\230\255\277\317\335\352\366\001\r\031&5EYq"
	.size	_ZL13kvalues_iq4nl, 16

	.type	_ZL9iq3s_grid,@object           ; @_ZL9iq3s_grid
	.section	.rodata,"a",@progbits
	.p2align	4, 0x0
_ZL9iq3s_grid:
	.long	16843009                        ; 0x1010101
	.long	16843011                        ; 0x1010103
	;; [unrolled: 1-line block ×281, first 2 shown]
	.long	117506309                       ; 0x7010105
	.long	117506819                       ; 0x7010303
	;; [unrolled: 1-line block ×231, first 2 shown]
	.size	_ZL9iq3s_grid, 2048

	.type	_ZL13kvalues_mxfp4,@object      ; @_ZL13kvalues_mxfp4
	.section	.rodata.cst16,"aM",@progbits,16
	.p2align	4, 0x0
_ZL13kvalues_mxfp4:
	.ascii	"\000\001\002\003\004\006\b\f\000\377\376\375\374\372\370\364"
	.size	_ZL13kvalues_mxfp4, 16

	.type	__hip_cuid_956cd1cfc87fc648,@object ; @__hip_cuid_956cd1cfc87fc648
	.section	.bss,"aw",@nobits
	.globl	__hip_cuid_956cd1cfc87fc648
__hip_cuid_956cd1cfc87fc648:
	.byte	0                               ; 0x0
	.size	__hip_cuid_956cd1cfc87fc648, 1

	.ident	"AMD clang version 22.0.0git (https://github.com/RadeonOpenCompute/llvm-project roc-7.2.4 26084 f58b06dce1f9c15707c5f808fd002e18c2accf7e)"
	.section	".note.GNU-stack","",@progbits
	.addrsig
	.addrsig_sym __hip_cuid_956cd1cfc87fc648
	.amdgpu_metadata
---
amdhsa.kernels:
  - .args:
      - .actual_access:  read_only
        .address_space:  global
        .offset:         0
        .size:           8
        .value_kind:     global_buffer
      - .actual_access:  write_only
        .address_space:  global
        .offset:         8
        .size:           8
        .value_kind:     global_buffer
      - .offset:         16
        .size:           8
        .value_kind:     by_value
    .group_segment_fixed_size: 2176
    .kernarg_segment_align: 8
    .kernarg_segment_size: 24
    .language:       OpenCL C
    .language_version:
      - 2
      - 0
    .max_flat_workgroup_size: 1024
    .name:           _ZL25dequantize_block_q8_0_f16ILb0EEvPKvP6__halfl
    .private_segment_fixed_size: 0
    .sgpr_count:     12
    .sgpr_spill_count: 0
    .symbol:         _ZL25dequantize_block_q8_0_f16ILb0EEvPKvP6__halfl.kd
    .uniform_work_group_size: 1
    .uses_dynamic_stack: false
    .vgpr_count:     60
    .vgpr_spill_count: 0
    .wavefront_size: 32
    .workgroup_processor_mode: 1
  - .args:
      - .actual_access:  read_only
        .address_space:  global
        .offset:         0
        .size:           8
        .value_kind:     global_buffer
      - .actual_access:  write_only
        .address_space:  global
        .offset:         8
        .size:           8
        .value_kind:     global_buffer
      - .offset:         16
        .size:           8
        .value_kind:     by_value
    .group_segment_fixed_size: 2176
    .kernarg_segment_align: 8
    .kernarg_segment_size: 24
    .language:       OpenCL C
    .language_version:
      - 2
      - 0
    .max_flat_workgroup_size: 1024
    .name:           _ZL25dequantize_block_q8_0_f16ILb1EEvPKvP6__halfl
    .private_segment_fixed_size: 0
    .sgpr_count:     18
    .sgpr_spill_count: 0
    .symbol:         _ZL25dequantize_block_q8_0_f16ILb1EEvPKvP6__halfl.kd
    .uniform_work_group_size: 1
    .uses_dynamic_stack: false
    .vgpr_count:     9
    .vgpr_spill_count: 0
    .wavefront_size: 32
    .workgroup_processor_mode: 1
  - .args:
      - .actual_access:  read_only
        .address_space:  global
        .offset:         0
        .size:           8
        .value_kind:     global_buffer
      - .actual_access:  write_only
        .address_space:  global
        .offset:         8
        .size:           8
        .value_kind:     global_buffer
      - .offset:         16
        .size:           4
        .value_kind:     by_value
    .group_segment_fixed_size: 0
    .kernarg_segment_align: 8
    .kernarg_segment_size: 20
    .language:       OpenCL C
    .language_version:
      - 2
      - 0
    .max_flat_workgroup_size: 1024
    .name:           _ZL21dequantize_block_q4_0I6__halfEvPKvPT_i
    .private_segment_fixed_size: 0
    .sgpr_count:     10
    .sgpr_spill_count: 0
    .symbol:         _ZL21dequantize_block_q4_0I6__halfEvPKvPT_i.kd
    .uniform_work_group_size: 1
    .uses_dynamic_stack: false
    .vgpr_count:     15
    .vgpr_spill_count: 0
    .wavefront_size: 32
    .workgroup_processor_mode: 1
  - .args:
      - .actual_access:  read_only
        .address_space:  global
        .offset:         0
        .size:           8
        .value_kind:     global_buffer
      - .actual_access:  write_only
        .address_space:  global
        .offset:         8
        .size:           8
        .value_kind:     global_buffer
      - .offset:         16
        .size:           4
        .value_kind:     by_value
    .group_segment_fixed_size: 0
    .kernarg_segment_align: 8
    .kernarg_segment_size: 20
    .language:       OpenCL C
    .language_version:
      - 2
      - 0
    .max_flat_workgroup_size: 1024
    .name:           _ZL21dequantize_block_q4_1I6__halfEvPKvPT_i
    .private_segment_fixed_size: 0
    .sgpr_count:     10
    .sgpr_spill_count: 0
    .symbol:         _ZL21dequantize_block_q4_1I6__halfEvPKvPT_i.kd
    .uniform_work_group_size: 1
    .uses_dynamic_stack: false
    .vgpr_count:     14
    .vgpr_spill_count: 0
    .wavefront_size: 32
    .workgroup_processor_mode: 1
  - .args:
      - .actual_access:  read_only
        .address_space:  global
        .offset:         0
        .size:           8
        .value_kind:     global_buffer
      - .actual_access:  write_only
        .address_space:  global
        .offset:         8
        .size:           8
        .value_kind:     global_buffer
    .group_segment_fixed_size: 0
    .kernarg_segment_align: 8
    .kernarg_segment_size: 16
    .language:       OpenCL C
    .language_version:
      - 2
      - 0
    .max_flat_workgroup_size: 1024
    .name:           _ZL21dequantize_block_q2_KI6__halfEvPKvPT_
    .private_segment_fixed_size: 0
    .sgpr_count:     10
    .sgpr_spill_count: 0
    .symbol:         _ZL21dequantize_block_q2_KI6__halfEvPKvPT_.kd
    .uniform_work_group_size: 1
    .uses_dynamic_stack: false
    .vgpr_count:     17
    .vgpr_spill_count: 0
    .wavefront_size: 32
    .workgroup_processor_mode: 1
  - .args:
      - .actual_access:  read_only
        .address_space:  global
        .offset:         0
        .size:           8
        .value_kind:     global_buffer
      - .actual_access:  write_only
        .address_space:  global
        .offset:         8
        .size:           8
        .value_kind:     global_buffer
    .group_segment_fixed_size: 0
    .kernarg_segment_align: 8
    .kernarg_segment_size: 16
    .language:       OpenCL C
    .language_version:
      - 2
      - 0
    .max_flat_workgroup_size: 1024
    .name:           _ZL21dequantize_block_q3_KI6__halfEvPKvPT_
    .private_segment_fixed_size: 0
    .sgpr_count:     14
    .sgpr_spill_count: 0
    .symbol:         _ZL21dequantize_block_q3_KI6__halfEvPKvPT_.kd
    .uniform_work_group_size: 1
    .uses_dynamic_stack: false
    .vgpr_count:     16
    .vgpr_spill_count: 0
    .wavefront_size: 32
    .workgroup_processor_mode: 1
  - .args:
      - .actual_access:  read_only
        .address_space:  global
        .offset:         0
        .size:           8
        .value_kind:     global_buffer
      - .actual_access:  write_only
        .address_space:  global
        .offset:         8
        .size:           8
        .value_kind:     global_buffer
    .group_segment_fixed_size: 0
    .kernarg_segment_align: 8
    .kernarg_segment_size: 16
    .language:       OpenCL C
    .language_version:
      - 2
      - 0
    .max_flat_workgroup_size: 1024
    .name:           _ZL21dequantize_block_q4_KI6__halfEvPKvPT_
    .private_segment_fixed_size: 0
    .sgpr_count:     10
    .sgpr_spill_count: 0
    .symbol:         _ZL21dequantize_block_q4_KI6__halfEvPKvPT_.kd
    .uniform_work_group_size: 1
    .uses_dynamic_stack: false
    .vgpr_count:     17
    .vgpr_spill_count: 0
    .wavefront_size: 32
    .workgroup_processor_mode: 1
  - .args:
      - .actual_access:  read_only
        .address_space:  global
        .offset:         0
        .size:           8
        .value_kind:     global_buffer
      - .actual_access:  write_only
        .address_space:  global
        .offset:         8
        .size:           8
        .value_kind:     global_buffer
    .group_segment_fixed_size: 0
    .kernarg_segment_align: 8
    .kernarg_segment_size: 16
    .language:       OpenCL C
    .language_version:
      - 2
      - 0
    .max_flat_workgroup_size: 1024
    .name:           _ZL21dequantize_block_q5_KI6__halfEvPKvPT_
    .private_segment_fixed_size: 0
    .sgpr_count:     10
    .sgpr_spill_count: 0
    .symbol:         _ZL21dequantize_block_q5_KI6__halfEvPKvPT_.kd
    .uniform_work_group_size: 1
    .uses_dynamic_stack: false
    .vgpr_count:     17
    .vgpr_spill_count: 0
    .wavefront_size: 32
    .workgroup_processor_mode: 1
  - .args:
      - .actual_access:  read_only
        .address_space:  global
        .offset:         0
        .size:           8
        .value_kind:     global_buffer
      - .actual_access:  write_only
        .address_space:  global
        .offset:         8
        .size:           8
        .value_kind:     global_buffer
    .group_segment_fixed_size: 0
    .kernarg_segment_align: 8
    .kernarg_segment_size: 16
    .language:       OpenCL C
    .language_version:
      - 2
      - 0
    .max_flat_workgroup_size: 1024
    .name:           _ZL21dequantize_block_q6_KI6__halfEvPKvPT_
    .private_segment_fixed_size: 0
    .sgpr_count:     10
    .sgpr_spill_count: 0
    .symbol:         _ZL21dequantize_block_q6_KI6__halfEvPKvPT_.kd
    .uniform_work_group_size: 1
    .uses_dynamic_stack: false
    .vgpr_count:     16
    .vgpr_spill_count: 0
    .wavefront_size: 32
    .workgroup_processor_mode: 1
  - .args:
      - .actual_access:  read_only
        .address_space:  global
        .offset:         0
        .size:           8
        .value_kind:     global_buffer
      - .actual_access:  write_only
        .address_space:  global
        .offset:         8
        .size:           8
        .value_kind:     global_buffer
    .group_segment_fixed_size: 0
    .kernarg_segment_align: 8
    .kernarg_segment_size: 16
    .language:       OpenCL C
    .language_version:
      - 2
      - 0
    .max_flat_workgroup_size: 1024
    .name:           _ZL24dequantize_block_iq2_xxsI6__halfEvPKvPT_
    .private_segment_fixed_size: 0
    .sgpr_count:     10
    .sgpr_spill_count: 0
    .symbol:         _ZL24dequantize_block_iq2_xxsI6__halfEvPKvPT_.kd
    .uniform_work_group_size: 1
    .uses_dynamic_stack: false
    .vgpr_count:     20
    .vgpr_spill_count: 0
    .wavefront_size: 32
    .workgroup_processor_mode: 1
  - .args:
      - .actual_access:  read_only
        .address_space:  global
        .offset:         0
        .size:           8
        .value_kind:     global_buffer
      - .actual_access:  write_only
        .address_space:  global
        .offset:         8
        .size:           8
        .value_kind:     global_buffer
    .group_segment_fixed_size: 0
    .kernarg_segment_align: 8
    .kernarg_segment_size: 16
    .language:       OpenCL C
    .language_version:
      - 2
      - 0
    .max_flat_workgroup_size: 1024
    .name:           _ZL23dequantize_block_iq2_xsI6__halfEvPKvPT_
    .private_segment_fixed_size: 0
    .sgpr_count:     10
    .sgpr_spill_count: 0
    .symbol:         _ZL23dequantize_block_iq2_xsI6__halfEvPKvPT_.kd
    .uniform_work_group_size: 1
    .uses_dynamic_stack: false
    .vgpr_count:     20
    .vgpr_spill_count: 0
    .wavefront_size: 32
    .workgroup_processor_mode: 1
  - .args:
      - .actual_access:  read_only
        .address_space:  global
        .offset:         0
        .size:           8
        .value_kind:     global_buffer
      - .actual_access:  write_only
        .address_space:  global
        .offset:         8
        .size:           8
        .value_kind:     global_buffer
    .group_segment_fixed_size: 0
    .kernarg_segment_align: 8
    .kernarg_segment_size: 16
    .language:       OpenCL C
    .language_version:
      - 2
      - 0
    .max_flat_workgroup_size: 1024
    .name:           _ZL22dequantize_block_iq2_sI6__halfEvPKvPT_
    .private_segment_fixed_size: 0
    .sgpr_count:     10
    .sgpr_spill_count: 0
    .symbol:         _ZL22dequantize_block_iq2_sI6__halfEvPKvPT_.kd
    .uniform_work_group_size: 1
    .uses_dynamic_stack: false
    .vgpr_count:     20
    .vgpr_spill_count: 0
    .wavefront_size: 32
    .workgroup_processor_mode: 1
  - .args:
      - .actual_access:  read_only
        .address_space:  global
        .offset:         0
        .size:           8
        .value_kind:     global_buffer
      - .actual_access:  write_only
        .address_space:  global
        .offset:         8
        .size:           8
        .value_kind:     global_buffer
    .group_segment_fixed_size: 0
    .kernarg_segment_align: 8
    .kernarg_segment_size: 16
    .language:       OpenCL C
    .language_version:
      - 2
      - 0
    .max_flat_workgroup_size: 1024
    .name:           _ZL24dequantize_block_iq3_xxsI6__halfEvPKvPT_
    .private_segment_fixed_size: 0
    .sgpr_count:     10
    .sgpr_spill_count: 0
    .symbol:         _ZL24dequantize_block_iq3_xxsI6__halfEvPKvPT_.kd
    .uniform_work_group_size: 1
    .uses_dynamic_stack: false
    .vgpr_count:     20
    .vgpr_spill_count: 0
    .wavefront_size: 32
    .workgroup_processor_mode: 1
  - .args:
      - .actual_access:  read_only
        .address_space:  global
        .offset:         0
        .size:           8
        .value_kind:     global_buffer
      - .actual_access:  write_only
        .address_space:  global
        .offset:         8
        .size:           8
        .value_kind:     global_buffer
    .group_segment_fixed_size: 0
    .kernarg_segment_align: 8
    .kernarg_segment_size: 16
    .language:       OpenCL C
    .language_version:
      - 2
      - 0
    .max_flat_workgroup_size: 1024
    .name:           _ZL22dequantize_block_iq1_sI6__halfEvPKvPT_
    .private_segment_fixed_size: 0
    .sgpr_count:     10
    .sgpr_spill_count: 0
    .symbol:         _ZL22dequantize_block_iq1_sI6__halfEvPKvPT_.kd
    .uniform_work_group_size: 1
    .uses_dynamic_stack: false
    .vgpr_count:     15
    .vgpr_spill_count: 0
    .wavefront_size: 32
    .workgroup_processor_mode: 1
  - .args:
      - .actual_access:  read_only
        .address_space:  global
        .offset:         0
        .size:           8
        .value_kind:     global_buffer
      - .actual_access:  write_only
        .address_space:  global
        .offset:         8
        .size:           8
        .value_kind:     global_buffer
    .group_segment_fixed_size: 0
    .kernarg_segment_align: 8
    .kernarg_segment_size: 16
    .language:       OpenCL C
    .language_version:
      - 2
      - 0
    .max_flat_workgroup_size: 1024
    .name:           _ZL22dequantize_block_iq1_mI6__halfEvPKvPT_
    .private_segment_fixed_size: 0
    .sgpr_count:     10
    .sgpr_spill_count: 0
    .symbol:         _ZL22dequantize_block_iq1_mI6__halfEvPKvPT_.kd
    .uniform_work_group_size: 1
    .uses_dynamic_stack: false
    .vgpr_count:     14
    .vgpr_spill_count: 0
    .wavefront_size: 32
    .workgroup_processor_mode: 1
  - .args:
      - .actual_access:  read_only
        .address_space:  global
        .offset:         0
        .size:           8
        .value_kind:     global_buffer
      - .actual_access:  write_only
        .address_space:  global
        .offset:         8
        .size:           8
        .value_kind:     global_buffer
    .group_segment_fixed_size: 0
    .kernarg_segment_align: 8
    .kernarg_segment_size: 16
    .language:       OpenCL C
    .language_version:
      - 2
      - 0
    .max_flat_workgroup_size: 1024
    .name:           _ZL23dequantize_block_iq4_nlI6__halfEvPKvPT_
    .private_segment_fixed_size: 0
    .sgpr_count:     10
    .sgpr_spill_count: 0
    .symbol:         _ZL23dequantize_block_iq4_nlI6__halfEvPKvPT_.kd
    .uniform_work_group_size: 1
    .uses_dynamic_stack: false
    .vgpr_count:     14
    .vgpr_spill_count: 0
    .wavefront_size: 32
    .workgroup_processor_mode: 1
  - .args:
      - .actual_access:  read_only
        .address_space:  global
        .offset:         0
        .size:           8
        .value_kind:     global_buffer
      - .actual_access:  write_only
        .address_space:  global
        .offset:         8
        .size:           8
        .value_kind:     global_buffer
    .group_segment_fixed_size: 0
    .kernarg_segment_align: 8
    .kernarg_segment_size: 16
    .language:       OpenCL C
    .language_version:
      - 2
      - 0
    .max_flat_workgroup_size: 1024
    .name:           _ZL23dequantize_block_iq4_xsI6__halfEvPKvPT_
    .private_segment_fixed_size: 0
    .sgpr_count:     10
    .sgpr_spill_count: 0
    .symbol:         _ZL23dequantize_block_iq4_xsI6__halfEvPKvPT_.kd
    .uniform_work_group_size: 1
    .uses_dynamic_stack: false
    .vgpr_count:     15
    .vgpr_spill_count: 0
    .wavefront_size: 32
    .workgroup_processor_mode: 1
  - .args:
      - .actual_access:  read_only
        .address_space:  global
        .offset:         0
        .size:           8
        .value_kind:     global_buffer
      - .actual_access:  write_only
        .address_space:  global
        .offset:         8
        .size:           8
        .value_kind:     global_buffer
    .group_segment_fixed_size: 0
    .kernarg_segment_align: 8
    .kernarg_segment_size: 16
    .language:       OpenCL C
    .language_version:
      - 2
      - 0
    .max_flat_workgroup_size: 1024
    .name:           _ZL22dequantize_block_iq3_sI6__halfEvPKvPT_
    .private_segment_fixed_size: 0
    .sgpr_count:     10
    .sgpr_spill_count: 0
    .symbol:         _ZL22dequantize_block_iq3_sI6__halfEvPKvPT_.kd
    .uniform_work_group_size: 1
    .uses_dynamic_stack: false
    .vgpr_count:     20
    .vgpr_spill_count: 0
    .wavefront_size: 32
    .workgroup_processor_mode: 1
  - .args:
      - .actual_access:  read_only
        .address_space:  global
        .offset:         0
        .size:           8
        .value_kind:     global_buffer
      - .actual_access:  write_only
        .address_space:  global
        .offset:         8
        .size:           8
        .value_kind:     global_buffer
    .group_segment_fixed_size: 0
    .kernarg_segment_align: 8
    .kernarg_segment_size: 16
    .language:       OpenCL C
    .language_version:
      - 2
      - 0
    .max_flat_workgroup_size: 1024
    .name:           _ZL22dequantize_block_mxfp4I6__halfEvPKvPT_
    .private_segment_fixed_size: 0
    .sgpr_count:     10
    .sgpr_spill_count: 0
    .symbol:         _ZL22dequantize_block_mxfp4I6__halfEvPKvPT_.kd
    .uniform_work_group_size: 1
    .uses_dynamic_stack: false
    .vgpr_count:     13
    .vgpr_spill_count: 0
    .wavefront_size: 32
    .workgroup_processor_mode: 1
  - .args:
      - .actual_access:  read_only
        .address_space:  global
        .offset:         0
        .size:           8
        .value_kind:     global_buffer
      - .actual_access:  write_only
        .address_space:  global
        .offset:         8
        .size:           8
        .value_kind:     global_buffer
      - .offset:         16
        .size:           8
        .value_kind:     by_value
    .group_segment_fixed_size: 0
    .kernarg_segment_align: 8
    .kernarg_segment_size: 24
    .language:       OpenCL C
    .language_version:
      - 2
      - 0
    .max_flat_workgroup_size: 1024
    .name:           _ZL22dequantize_block_nvfp4I6__halfEvPKvPT_l
    .private_segment_fixed_size: 0
    .sgpr_count:     12
    .sgpr_spill_count: 0
    .symbol:         _ZL22dequantize_block_nvfp4I6__halfEvPKvPT_l.kd
    .uniform_work_group_size: 1
    .uses_dynamic_stack: false
    .vgpr_count:     6
    .vgpr_spill_count: 0
    .wavefront_size: 32
    .workgroup_processor_mode: 1
  - .args:
      - .actual_access:  read_only
        .address_space:  global
        .offset:         0
        .size:           8
        .value_kind:     global_buffer
      - .actual_access:  write_only
        .address_space:  global
        .offset:         8
        .size:           8
        .value_kind:     global_buffer
      - .offset:         16
        .size:           4
        .value_kind:     by_value
    .group_segment_fixed_size: 0
    .kernarg_segment_align: 8
    .kernarg_segment_size: 20
    .language:       OpenCL C
    .language_version:
      - 2
      - 0
    .max_flat_workgroup_size: 1024
    .name:           _ZL21dequantize_block_q4_0IfEvPKvPT_i
    .private_segment_fixed_size: 0
    .sgpr_count:     10
    .sgpr_spill_count: 0
    .symbol:         _ZL21dequantize_block_q4_0IfEvPKvPT_i.kd
    .uniform_work_group_size: 1
    .uses_dynamic_stack: false
    .vgpr_count:     15
    .vgpr_spill_count: 0
    .wavefront_size: 32
    .workgroup_processor_mode: 1
  - .args:
      - .actual_access:  read_only
        .address_space:  global
        .offset:         0
        .size:           8
        .value_kind:     global_buffer
      - .actual_access:  write_only
        .address_space:  global
        .offset:         8
        .size:           8
        .value_kind:     global_buffer
      - .offset:         16
        .size:           4
        .value_kind:     by_value
    .group_segment_fixed_size: 0
    .kernarg_segment_align: 8
    .kernarg_segment_size: 20
    .language:       OpenCL C
    .language_version:
      - 2
      - 0
    .max_flat_workgroup_size: 1024
    .name:           _ZL21dequantize_block_q4_1IfEvPKvPT_i
    .private_segment_fixed_size: 0
    .sgpr_count:     10
    .sgpr_spill_count: 0
    .symbol:         _ZL21dequantize_block_q4_1IfEvPKvPT_i.kd
    .uniform_work_group_size: 1
    .uses_dynamic_stack: false
    .vgpr_count:     14
    .vgpr_spill_count: 0
    .wavefront_size: 32
    .workgroup_processor_mode: 1
  - .args:
      - .actual_access:  read_only
        .address_space:  global
        .offset:         0
        .size:           8
        .value_kind:     global_buffer
      - .actual_access:  write_only
        .address_space:  global
        .offset:         8
        .size:           8
        .value_kind:     global_buffer
    .group_segment_fixed_size: 0
    .kernarg_segment_align: 8
    .kernarg_segment_size: 16
    .language:       OpenCL C
    .language_version:
      - 2
      - 0
    .max_flat_workgroup_size: 1024
    .name:           _ZL21dequantize_block_q2_KIfEvPKvPT_
    .private_segment_fixed_size: 0
    .sgpr_count:     10
    .sgpr_spill_count: 0
    .symbol:         _ZL21dequantize_block_q2_KIfEvPKvPT_.kd
    .uniform_work_group_size: 1
    .uses_dynamic_stack: false
    .vgpr_count:     17
    .vgpr_spill_count: 0
    .wavefront_size: 32
    .workgroup_processor_mode: 1
  - .args:
      - .actual_access:  read_only
        .address_space:  global
        .offset:         0
        .size:           8
        .value_kind:     global_buffer
      - .actual_access:  write_only
        .address_space:  global
        .offset:         8
        .size:           8
        .value_kind:     global_buffer
    .group_segment_fixed_size: 0
    .kernarg_segment_align: 8
    .kernarg_segment_size: 16
    .language:       OpenCL C
    .language_version:
      - 2
      - 0
    .max_flat_workgroup_size: 1024
    .name:           _ZL21dequantize_block_q3_KIfEvPKvPT_
    .private_segment_fixed_size: 0
    .sgpr_count:     14
    .sgpr_spill_count: 0
    .symbol:         _ZL21dequantize_block_q3_KIfEvPKvPT_.kd
    .uniform_work_group_size: 1
    .uses_dynamic_stack: false
    .vgpr_count:     15
    .vgpr_spill_count: 0
    .wavefront_size: 32
    .workgroup_processor_mode: 1
  - .args:
      - .actual_access:  read_only
        .address_space:  global
        .offset:         0
        .size:           8
        .value_kind:     global_buffer
      - .actual_access:  write_only
        .address_space:  global
        .offset:         8
        .size:           8
        .value_kind:     global_buffer
    .group_segment_fixed_size: 0
    .kernarg_segment_align: 8
    .kernarg_segment_size: 16
    .language:       OpenCL C
    .language_version:
      - 2
      - 0
    .max_flat_workgroup_size: 1024
    .name:           _ZL21dequantize_block_q4_KIfEvPKvPT_
    .private_segment_fixed_size: 0
    .sgpr_count:     10
    .sgpr_spill_count: 0
    .symbol:         _ZL21dequantize_block_q4_KIfEvPKvPT_.kd
    .uniform_work_group_size: 1
    .uses_dynamic_stack: false
    .vgpr_count:     18
    .vgpr_spill_count: 0
    .wavefront_size: 32
    .workgroup_processor_mode: 1
  - .args:
      - .actual_access:  read_only
        .address_space:  global
        .offset:         0
        .size:           8
        .value_kind:     global_buffer
      - .actual_access:  write_only
        .address_space:  global
        .offset:         8
        .size:           8
        .value_kind:     global_buffer
    .group_segment_fixed_size: 0
    .kernarg_segment_align: 8
    .kernarg_segment_size: 16
    .language:       OpenCL C
    .language_version:
      - 2
      - 0
    .max_flat_workgroup_size: 1024
    .name:           _ZL21dequantize_block_q5_KIfEvPKvPT_
    .private_segment_fixed_size: 0
    .sgpr_count:     10
    .sgpr_spill_count: 0
    .symbol:         _ZL21dequantize_block_q5_KIfEvPKvPT_.kd
    .uniform_work_group_size: 1
    .uses_dynamic_stack: false
    .vgpr_count:     17
    .vgpr_spill_count: 0
    .wavefront_size: 32
    .workgroup_processor_mode: 1
  - .args:
      - .actual_access:  read_only
        .address_space:  global
        .offset:         0
        .size:           8
        .value_kind:     global_buffer
      - .actual_access:  write_only
        .address_space:  global
        .offset:         8
        .size:           8
        .value_kind:     global_buffer
    .group_segment_fixed_size: 0
    .kernarg_segment_align: 8
    .kernarg_segment_size: 16
    .language:       OpenCL C
    .language_version:
      - 2
      - 0
    .max_flat_workgroup_size: 1024
    .name:           _ZL21dequantize_block_q6_KIfEvPKvPT_
    .private_segment_fixed_size: 0
    .sgpr_count:     10
    .sgpr_spill_count: 0
    .symbol:         _ZL21dequantize_block_q6_KIfEvPKvPT_.kd
    .uniform_work_group_size: 1
    .uses_dynamic_stack: false
    .vgpr_count:     16
    .vgpr_spill_count: 0
    .wavefront_size: 32
    .workgroup_processor_mode: 1
  - .args:
      - .actual_access:  read_only
        .address_space:  global
        .offset:         0
        .size:           8
        .value_kind:     global_buffer
      - .actual_access:  write_only
        .address_space:  global
        .offset:         8
        .size:           8
        .value_kind:     global_buffer
    .group_segment_fixed_size: 0
    .kernarg_segment_align: 8
    .kernarg_segment_size: 16
    .language:       OpenCL C
    .language_version:
      - 2
      - 0
    .max_flat_workgroup_size: 1024
    .name:           _ZL24dequantize_block_iq2_xxsIfEvPKvPT_
    .private_segment_fixed_size: 0
    .sgpr_count:     10
    .sgpr_spill_count: 0
    .symbol:         _ZL24dequantize_block_iq2_xxsIfEvPKvPT_.kd
    .uniform_work_group_size: 1
    .uses_dynamic_stack: false
    .vgpr_count:     21
    .vgpr_spill_count: 0
    .wavefront_size: 32
    .workgroup_processor_mode: 1
  - .args:
      - .actual_access:  read_only
        .address_space:  global
        .offset:         0
        .size:           8
        .value_kind:     global_buffer
      - .actual_access:  write_only
        .address_space:  global
        .offset:         8
        .size:           8
        .value_kind:     global_buffer
    .group_segment_fixed_size: 0
    .kernarg_segment_align: 8
    .kernarg_segment_size: 16
    .language:       OpenCL C
    .language_version:
      - 2
      - 0
    .max_flat_workgroup_size: 1024
    .name:           _ZL23dequantize_block_iq2_xsIfEvPKvPT_
    .private_segment_fixed_size: 0
    .sgpr_count:     10
    .sgpr_spill_count: 0
    .symbol:         _ZL23dequantize_block_iq2_xsIfEvPKvPT_.kd
    .uniform_work_group_size: 1
    .uses_dynamic_stack: false
    .vgpr_count:     21
    .vgpr_spill_count: 0
    .wavefront_size: 32
    .workgroup_processor_mode: 1
  - .args:
      - .actual_access:  read_only
        .address_space:  global
        .offset:         0
        .size:           8
        .value_kind:     global_buffer
      - .actual_access:  write_only
        .address_space:  global
        .offset:         8
        .size:           8
        .value_kind:     global_buffer
    .group_segment_fixed_size: 0
    .kernarg_segment_align: 8
    .kernarg_segment_size: 16
    .language:       OpenCL C
    .language_version:
      - 2
      - 0
    .max_flat_workgroup_size: 1024
    .name:           _ZL22dequantize_block_iq2_sIfEvPKvPT_
    .private_segment_fixed_size: 0
    .sgpr_count:     10
    .sgpr_spill_count: 0
    .symbol:         _ZL22dequantize_block_iq2_sIfEvPKvPT_.kd
    .uniform_work_group_size: 1
    .uses_dynamic_stack: false
    .vgpr_count:     21
    .vgpr_spill_count: 0
    .wavefront_size: 32
    .workgroup_processor_mode: 1
  - .args:
      - .actual_access:  read_only
        .address_space:  global
        .offset:         0
        .size:           8
        .value_kind:     global_buffer
      - .actual_access:  write_only
        .address_space:  global
        .offset:         8
        .size:           8
        .value_kind:     global_buffer
    .group_segment_fixed_size: 0
    .kernarg_segment_align: 8
    .kernarg_segment_size: 16
    .language:       OpenCL C
    .language_version:
      - 2
      - 0
    .max_flat_workgroup_size: 1024
    .name:           _ZL24dequantize_block_iq3_xxsIfEvPKvPT_
    .private_segment_fixed_size: 0
    .sgpr_count:     10
    .sgpr_spill_count: 0
    .symbol:         _ZL24dequantize_block_iq3_xxsIfEvPKvPT_.kd
    .uniform_work_group_size: 1
    .uses_dynamic_stack: false
    .vgpr_count:     20
    .vgpr_spill_count: 0
    .wavefront_size: 32
    .workgroup_processor_mode: 1
  - .args:
      - .actual_access:  read_only
        .address_space:  global
        .offset:         0
        .size:           8
        .value_kind:     global_buffer
      - .actual_access:  write_only
        .address_space:  global
        .offset:         8
        .size:           8
        .value_kind:     global_buffer
    .group_segment_fixed_size: 0
    .kernarg_segment_align: 8
    .kernarg_segment_size: 16
    .language:       OpenCL C
    .language_version:
      - 2
      - 0
    .max_flat_workgroup_size: 1024
    .name:           _ZL22dequantize_block_iq1_sIfEvPKvPT_
    .private_segment_fixed_size: 0
    .sgpr_count:     10
    .sgpr_spill_count: 0
    .symbol:         _ZL22dequantize_block_iq1_sIfEvPKvPT_.kd
    .uniform_work_group_size: 1
    .uses_dynamic_stack: false
    .vgpr_count:     14
    .vgpr_spill_count: 0
    .wavefront_size: 32
    .workgroup_processor_mode: 1
  - .args:
      - .actual_access:  read_only
        .address_space:  global
        .offset:         0
        .size:           8
        .value_kind:     global_buffer
      - .actual_access:  write_only
        .address_space:  global
        .offset:         8
        .size:           8
        .value_kind:     global_buffer
    .group_segment_fixed_size: 0
    .kernarg_segment_align: 8
    .kernarg_segment_size: 16
    .language:       OpenCL C
    .language_version:
      - 2
      - 0
    .max_flat_workgroup_size: 1024
    .name:           _ZL22dequantize_block_iq1_mIfEvPKvPT_
    .private_segment_fixed_size: 0
    .sgpr_count:     10
    .sgpr_spill_count: 0
    .symbol:         _ZL22dequantize_block_iq1_mIfEvPKvPT_.kd
    .uniform_work_group_size: 1
    .uses_dynamic_stack: false
    .vgpr_count:     14
    .vgpr_spill_count: 0
    .wavefront_size: 32
    .workgroup_processor_mode: 1
  - .args:
      - .actual_access:  read_only
        .address_space:  global
        .offset:         0
        .size:           8
        .value_kind:     global_buffer
      - .actual_access:  write_only
        .address_space:  global
        .offset:         8
        .size:           8
        .value_kind:     global_buffer
    .group_segment_fixed_size: 0
    .kernarg_segment_align: 8
    .kernarg_segment_size: 16
    .language:       OpenCL C
    .language_version:
      - 2
      - 0
    .max_flat_workgroup_size: 1024
    .name:           _ZL23dequantize_block_iq4_nlIfEvPKvPT_
    .private_segment_fixed_size: 0
    .sgpr_count:     10
    .sgpr_spill_count: 0
    .symbol:         _ZL23dequantize_block_iq4_nlIfEvPKvPT_.kd
    .uniform_work_group_size: 1
    .uses_dynamic_stack: false
    .vgpr_count:     16
    .vgpr_spill_count: 0
    .wavefront_size: 32
    .workgroup_processor_mode: 1
  - .args:
      - .actual_access:  read_only
        .address_space:  global
        .offset:         0
        .size:           8
        .value_kind:     global_buffer
      - .actual_access:  write_only
        .address_space:  global
        .offset:         8
        .size:           8
        .value_kind:     global_buffer
    .group_segment_fixed_size: 0
    .kernarg_segment_align: 8
    .kernarg_segment_size: 16
    .language:       OpenCL C
    .language_version:
      - 2
      - 0
    .max_flat_workgroup_size: 1024
    .name:           _ZL23dequantize_block_iq4_xsIfEvPKvPT_
    .private_segment_fixed_size: 0
    .sgpr_count:     10
    .sgpr_spill_count: 0
    .symbol:         _ZL23dequantize_block_iq4_xsIfEvPKvPT_.kd
    .uniform_work_group_size: 1
    .uses_dynamic_stack: false
    .vgpr_count:     15
    .vgpr_spill_count: 0
    .wavefront_size: 32
    .workgroup_processor_mode: 1
  - .args:
      - .actual_access:  read_only
        .address_space:  global
        .offset:         0
        .size:           8
        .value_kind:     global_buffer
      - .actual_access:  write_only
        .address_space:  global
        .offset:         8
        .size:           8
        .value_kind:     global_buffer
    .group_segment_fixed_size: 0
    .kernarg_segment_align: 8
    .kernarg_segment_size: 16
    .language:       OpenCL C
    .language_version:
      - 2
      - 0
    .max_flat_workgroup_size: 1024
    .name:           _ZL22dequantize_block_iq3_sIfEvPKvPT_
    .private_segment_fixed_size: 0
    .sgpr_count:     10
    .sgpr_spill_count: 0
    .symbol:         _ZL22dequantize_block_iq3_sIfEvPKvPT_.kd
    .uniform_work_group_size: 1
    .uses_dynamic_stack: false
    .vgpr_count:     21
    .vgpr_spill_count: 0
    .wavefront_size: 32
    .workgroup_processor_mode: 1
  - .args:
      - .actual_access:  read_only
        .address_space:  global
        .offset:         0
        .size:           8
        .value_kind:     global_buffer
      - .actual_access:  write_only
        .address_space:  global
        .offset:         8
        .size:           8
        .value_kind:     global_buffer
    .group_segment_fixed_size: 0
    .kernarg_segment_align: 8
    .kernarg_segment_size: 16
    .language:       OpenCL C
    .language_version:
      - 2
      - 0
    .max_flat_workgroup_size: 1024
    .name:           _ZL22dequantize_block_mxfp4IfEvPKvPT_
    .private_segment_fixed_size: 0
    .sgpr_count:     10
    .sgpr_spill_count: 0
    .symbol:         _ZL22dequantize_block_mxfp4IfEvPKvPT_.kd
    .uniform_work_group_size: 1
    .uses_dynamic_stack: false
    .vgpr_count:     14
    .vgpr_spill_count: 0
    .wavefront_size: 32
    .workgroup_processor_mode: 1
  - .args:
      - .actual_access:  read_only
        .address_space:  global
        .offset:         0
        .size:           8
        .value_kind:     global_buffer
      - .actual_access:  write_only
        .address_space:  global
        .offset:         8
        .size:           8
        .value_kind:     global_buffer
      - .offset:         16
        .size:           8
        .value_kind:     by_value
    .group_segment_fixed_size: 0
    .kernarg_segment_align: 8
    .kernarg_segment_size: 24
    .language:       OpenCL C
    .language_version:
      - 2
      - 0
    .max_flat_workgroup_size: 1024
    .name:           _ZL22dequantize_block_nvfp4IfEvPKvPT_l
    .private_segment_fixed_size: 0
    .sgpr_count:     12
    .sgpr_spill_count: 0
    .symbol:         _ZL22dequantize_block_nvfp4IfEvPKvPT_l.kd
    .uniform_work_group_size: 1
    .uses_dynamic_stack: false
    .vgpr_count:     6
    .vgpr_spill_count: 0
    .wavefront_size: 32
    .workgroup_processor_mode: 1
  - .args:
      - .actual_access:  read_only
        .address_space:  global
        .offset:         0
        .size:           8
        .value_kind:     global_buffer
      - .actual_access:  write_only
        .address_space:  global
        .offset:         8
        .size:           8
        .value_kind:     global_buffer
      - .offset:         16
        .size:           8
        .value_kind:     by_value
      - .offset:         24
        .size:           8
        .value_kind:     by_value
      - .offset:         32
        .size:           8
        .value_kind:     by_value
      - .offset:         40
        .size:           12
        .value_kind:     by_value
      - .offset:         56
        .size:           8
        .value_kind:     by_value
      - .offset:         64
        .size:           8
        .value_kind:     by_value
      - .offset:         72
        .size:           8
        .value_kind:     by_value
      - .offset:         80
        .size:           4
        .value_kind:     hidden_block_count_x
      - .offset:         84
        .size:           4
        .value_kind:     hidden_block_count_y
      - .offset:         88
        .size:           4
        .value_kind:     hidden_block_count_z
      - .offset:         92
        .size:           2
        .value_kind:     hidden_group_size_x
      - .offset:         94
        .size:           2
        .value_kind:     hidden_group_size_y
      - .offset:         96
        .size:           2
        .value_kind:     hidden_group_size_z
      - .offset:         98
        .size:           2
        .value_kind:     hidden_remainder_x
      - .offset:         100
        .size:           2
        .value_kind:     hidden_remainder_y
      - .offset:         102
        .size:           2
        .value_kind:     hidden_remainder_z
      - .offset:         120
        .size:           8
        .value_kind:     hidden_global_offset_x
      - .offset:         128
        .size:           8
        .value_kind:     hidden_global_offset_y
      - .offset:         136
        .size:           8
        .value_kind:     hidden_global_offset_z
      - .offset:         144
        .size:           2
        .value_kind:     hidden_grid_dims
    .group_segment_fixed_size: 0
    .kernarg_segment_align: 8
    .kernarg_segment_size: 336
    .language:       OpenCL C
    .language_version:
      - 2
      - 0
    .max_flat_workgroup_size: 1024
    .name:           _ZL13convert_unaryIf6__halfEvPKvPT0_lll15HIP_vector_typeIjLj3EElll
    .private_segment_fixed_size: 0
    .sgpr_count:     43
    .sgpr_spill_count: 0
    .symbol:         _ZL13convert_unaryIf6__halfEvPKvPT0_lll15HIP_vector_typeIjLj3EElll.kd
    .uniform_work_group_size: 1
    .uses_dynamic_stack: false
    .vgpr_count:     8
    .vgpr_spill_count: 0
    .wavefront_size: 32
    .workgroup_processor_mode: 1
  - .args:
      - .actual_access:  read_only
        .address_space:  global
        .offset:         0
        .size:           8
        .value_kind:     global_buffer
      - .actual_access:  write_only
        .address_space:  global
        .offset:         8
        .size:           8
        .value_kind:     global_buffer
      - .offset:         16
        .size:           8
        .value_kind:     by_value
      - .offset:         24
        .size:           8
        .value_kind:     by_value
      - .offset:         32
        .size:           8
        .value_kind:     by_value
      - .offset:         40
        .size:           12
        .value_kind:     by_value
      - .offset:         56
        .size:           8
        .value_kind:     by_value
      - .offset:         64
        .size:           8
        .value_kind:     by_value
      - .offset:         72
        .size:           8
        .value_kind:     by_value
      - .offset:         80
        .size:           4
        .value_kind:     hidden_block_count_x
      - .offset:         84
        .size:           4
        .value_kind:     hidden_block_count_y
      - .offset:         88
        .size:           4
        .value_kind:     hidden_block_count_z
      - .offset:         92
        .size:           2
        .value_kind:     hidden_group_size_x
      - .offset:         94
        .size:           2
        .value_kind:     hidden_group_size_y
      - .offset:         96
        .size:           2
        .value_kind:     hidden_group_size_z
      - .offset:         98
        .size:           2
        .value_kind:     hidden_remainder_x
      - .offset:         100
        .size:           2
        .value_kind:     hidden_remainder_y
      - .offset:         102
        .size:           2
        .value_kind:     hidden_remainder_z
      - .offset:         120
        .size:           8
        .value_kind:     hidden_global_offset_x
      - .offset:         128
        .size:           8
        .value_kind:     hidden_global_offset_y
      - .offset:         136
        .size:           8
        .value_kind:     hidden_global_offset_z
      - .offset:         144
        .size:           2
        .value_kind:     hidden_grid_dims
    .group_segment_fixed_size: 0
    .kernarg_segment_align: 8
    .kernarg_segment_size: 336
    .language:       OpenCL C
    .language_version:
      - 2
      - 0
    .max_flat_workgroup_size: 1024
    .name:           _ZL16dequantize_blockILi128ELi1EXadL_ZL15dequantize_q1_0PKvliR15HIP_vector_typeIfLj2EEEE6__halfEvS1_PT2_lllS2_IjLj3EElll
    .private_segment_fixed_size: 0
    .sgpr_count:     43
    .sgpr_spill_count: 0
    .symbol:         _ZL16dequantize_blockILi128ELi1EXadL_ZL15dequantize_q1_0PKvliR15HIP_vector_typeIfLj2EEEE6__halfEvS1_PT2_lllS2_IjLj3EElll.kd
    .uniform_work_group_size: 1
    .uses_dynamic_stack: false
    .vgpr_count:     13
    .vgpr_spill_count: 0
    .wavefront_size: 32
    .workgroup_processor_mode: 1
  - .args:
      - .actual_access:  read_only
        .address_space:  global
        .offset:         0
        .size:           8
        .value_kind:     global_buffer
      - .actual_access:  write_only
        .address_space:  global
        .offset:         8
        .size:           8
        .value_kind:     global_buffer
      - .offset:         16
        .size:           8
        .value_kind:     by_value
      - .offset:         24
        .size:           8
        .value_kind:     by_value
      - .offset:         32
        .size:           8
        .value_kind:     by_value
      - .offset:         40
        .size:           12
        .value_kind:     by_value
      - .offset:         56
        .size:           8
        .value_kind:     by_value
      - .offset:         64
        .size:           8
        .value_kind:     by_value
      - .offset:         72
        .size:           8
        .value_kind:     by_value
      - .offset:         80
        .size:           4
        .value_kind:     hidden_block_count_x
      - .offset:         84
        .size:           4
        .value_kind:     hidden_block_count_y
      - .offset:         88
        .size:           4
        .value_kind:     hidden_block_count_z
      - .offset:         92
        .size:           2
        .value_kind:     hidden_group_size_x
      - .offset:         94
        .size:           2
        .value_kind:     hidden_group_size_y
      - .offset:         96
        .size:           2
        .value_kind:     hidden_group_size_z
      - .offset:         98
        .size:           2
        .value_kind:     hidden_remainder_x
      - .offset:         100
        .size:           2
        .value_kind:     hidden_remainder_y
      - .offset:         102
        .size:           2
        .value_kind:     hidden_remainder_z
      - .offset:         120
        .size:           8
        .value_kind:     hidden_global_offset_x
      - .offset:         128
        .size:           8
        .value_kind:     hidden_global_offset_y
      - .offset:         136
        .size:           8
        .value_kind:     hidden_global_offset_z
      - .offset:         144
        .size:           2
        .value_kind:     hidden_grid_dims
    .group_segment_fixed_size: 0
    .kernarg_segment_align: 8
    .kernarg_segment_size: 336
    .language:       OpenCL C
    .language_version:
      - 2
      - 0
    .max_flat_workgroup_size: 1024
    .name:           _ZL16dequantize_blockILi32ELi2EXadL_ZL15dequantize_q4_0PKvliR15HIP_vector_typeIfLj2EEEE6__halfEvS1_PT2_lllS2_IjLj3EElll
    .private_segment_fixed_size: 0
    .sgpr_count:     43
    .sgpr_spill_count: 0
    .symbol:         _ZL16dequantize_blockILi32ELi2EXadL_ZL15dequantize_q4_0PKvliR15HIP_vector_typeIfLj2EEEE6__halfEvS1_PT2_lllS2_IjLj3EElll.kd
    .uniform_work_group_size: 1
    .uses_dynamic_stack: false
    .vgpr_count:     11
    .vgpr_spill_count: 0
    .wavefront_size: 32
    .workgroup_processor_mode: 1
  - .args:
      - .actual_access:  read_only
        .address_space:  global
        .offset:         0
        .size:           8
        .value_kind:     global_buffer
      - .actual_access:  write_only
        .address_space:  global
        .offset:         8
        .size:           8
        .value_kind:     global_buffer
      - .offset:         16
        .size:           8
        .value_kind:     by_value
      - .offset:         24
        .size:           8
        .value_kind:     by_value
      - .offset:         32
        .size:           8
        .value_kind:     by_value
      - .offset:         40
        .size:           12
        .value_kind:     by_value
      - .offset:         56
        .size:           8
        .value_kind:     by_value
      - .offset:         64
        .size:           8
        .value_kind:     by_value
      - .offset:         72
        .size:           8
        .value_kind:     by_value
      - .offset:         80
        .size:           4
        .value_kind:     hidden_block_count_x
      - .offset:         84
        .size:           4
        .value_kind:     hidden_block_count_y
      - .offset:         88
        .size:           4
        .value_kind:     hidden_block_count_z
      - .offset:         92
        .size:           2
        .value_kind:     hidden_group_size_x
      - .offset:         94
        .size:           2
        .value_kind:     hidden_group_size_y
      - .offset:         96
        .size:           2
        .value_kind:     hidden_group_size_z
      - .offset:         98
        .size:           2
        .value_kind:     hidden_remainder_x
      - .offset:         100
        .size:           2
        .value_kind:     hidden_remainder_y
      - .offset:         102
        .size:           2
        .value_kind:     hidden_remainder_z
      - .offset:         120
        .size:           8
        .value_kind:     hidden_global_offset_x
      - .offset:         128
        .size:           8
        .value_kind:     hidden_global_offset_y
      - .offset:         136
        .size:           8
        .value_kind:     hidden_global_offset_z
      - .offset:         144
        .size:           2
        .value_kind:     hidden_grid_dims
    .group_segment_fixed_size: 0
    .kernarg_segment_align: 8
    .kernarg_segment_size: 336
    .language:       OpenCL C
    .language_version:
      - 2
      - 0
    .max_flat_workgroup_size: 1024
    .name:           _ZL16dequantize_blockILi32ELi2EXadL_ZL15dequantize_q4_1PKvliR15HIP_vector_typeIfLj2EEEE6__halfEvS1_PT2_lllS2_IjLj3EElll
    .private_segment_fixed_size: 0
    .sgpr_count:     43
    .sgpr_spill_count: 0
    .symbol:         _ZL16dequantize_blockILi32ELi2EXadL_ZL15dequantize_q4_1PKvliR15HIP_vector_typeIfLj2EEEE6__halfEvS1_PT2_lllS2_IjLj3EElll.kd
    .uniform_work_group_size: 1
    .uses_dynamic_stack: false
    .vgpr_count:     11
    .vgpr_spill_count: 0
    .wavefront_size: 32
    .workgroup_processor_mode: 1
  - .args:
      - .actual_access:  read_only
        .address_space:  global
        .offset:         0
        .size:           8
        .value_kind:     global_buffer
      - .actual_access:  write_only
        .address_space:  global
        .offset:         8
        .size:           8
        .value_kind:     global_buffer
      - .offset:         16
        .size:           8
        .value_kind:     by_value
      - .offset:         24
        .size:           8
        .value_kind:     by_value
      - .offset:         32
        .size:           8
        .value_kind:     by_value
      - .offset:         40
        .size:           12
        .value_kind:     by_value
      - .offset:         56
        .size:           8
        .value_kind:     by_value
      - .offset:         64
        .size:           8
        .value_kind:     by_value
      - .offset:         72
        .size:           8
        .value_kind:     by_value
      - .offset:         80
        .size:           4
        .value_kind:     hidden_block_count_x
      - .offset:         84
        .size:           4
        .value_kind:     hidden_block_count_y
      - .offset:         88
        .size:           4
        .value_kind:     hidden_block_count_z
      - .offset:         92
        .size:           2
        .value_kind:     hidden_group_size_x
      - .offset:         94
        .size:           2
        .value_kind:     hidden_group_size_y
      - .offset:         96
        .size:           2
        .value_kind:     hidden_group_size_z
      - .offset:         98
        .size:           2
        .value_kind:     hidden_remainder_x
      - .offset:         100
        .size:           2
        .value_kind:     hidden_remainder_y
      - .offset:         102
        .size:           2
        .value_kind:     hidden_remainder_z
      - .offset:         120
        .size:           8
        .value_kind:     hidden_global_offset_x
      - .offset:         128
        .size:           8
        .value_kind:     hidden_global_offset_y
      - .offset:         136
        .size:           8
        .value_kind:     hidden_global_offset_z
      - .offset:         144
        .size:           2
        .value_kind:     hidden_grid_dims
    .group_segment_fixed_size: 0
    .kernarg_segment_align: 8
    .kernarg_segment_size: 336
    .language:       OpenCL C
    .language_version:
      - 2
      - 0
    .max_flat_workgroup_size: 1024
    .name:           _ZL16dequantize_blockILi32ELi2EXadL_ZL15dequantize_q5_0PKvliR15HIP_vector_typeIfLj2EEEE6__halfEvS1_PT2_lllS2_IjLj3EElll
    .private_segment_fixed_size: 0
    .sgpr_count:     43
    .sgpr_spill_count: 0
    .symbol:         _ZL16dequantize_blockILi32ELi2EXadL_ZL15dequantize_q5_0PKvliR15HIP_vector_typeIfLj2EEEE6__halfEvS1_PT2_lllS2_IjLj3EElll.kd
    .uniform_work_group_size: 1
    .uses_dynamic_stack: false
    .vgpr_count:     13
    .vgpr_spill_count: 0
    .wavefront_size: 32
    .workgroup_processor_mode: 1
  - .args:
      - .actual_access:  read_only
        .address_space:  global
        .offset:         0
        .size:           8
        .value_kind:     global_buffer
      - .actual_access:  write_only
        .address_space:  global
        .offset:         8
        .size:           8
        .value_kind:     global_buffer
      - .offset:         16
        .size:           8
        .value_kind:     by_value
      - .offset:         24
        .size:           8
        .value_kind:     by_value
      - .offset:         32
        .size:           8
        .value_kind:     by_value
      - .offset:         40
        .size:           12
        .value_kind:     by_value
      - .offset:         56
        .size:           8
        .value_kind:     by_value
      - .offset:         64
        .size:           8
        .value_kind:     by_value
      - .offset:         72
        .size:           8
        .value_kind:     by_value
      - .offset:         80
        .size:           4
        .value_kind:     hidden_block_count_x
      - .offset:         84
        .size:           4
        .value_kind:     hidden_block_count_y
      - .offset:         88
        .size:           4
        .value_kind:     hidden_block_count_z
      - .offset:         92
        .size:           2
        .value_kind:     hidden_group_size_x
      - .offset:         94
        .size:           2
        .value_kind:     hidden_group_size_y
      - .offset:         96
        .size:           2
        .value_kind:     hidden_group_size_z
      - .offset:         98
        .size:           2
        .value_kind:     hidden_remainder_x
      - .offset:         100
        .size:           2
        .value_kind:     hidden_remainder_y
      - .offset:         102
        .size:           2
        .value_kind:     hidden_remainder_z
      - .offset:         120
        .size:           8
        .value_kind:     hidden_global_offset_x
      - .offset:         128
        .size:           8
        .value_kind:     hidden_global_offset_y
      - .offset:         136
        .size:           8
        .value_kind:     hidden_global_offset_z
      - .offset:         144
        .size:           2
        .value_kind:     hidden_grid_dims
    .group_segment_fixed_size: 0
    .kernarg_segment_align: 8
    .kernarg_segment_size: 336
    .language:       OpenCL C
    .language_version:
      - 2
      - 0
    .max_flat_workgroup_size: 1024
    .name:           _ZL16dequantize_blockILi32ELi2EXadL_ZL15dequantize_q5_1PKvliR15HIP_vector_typeIfLj2EEEE6__halfEvS1_PT2_lllS2_IjLj3EElll
    .private_segment_fixed_size: 0
    .sgpr_count:     43
    .sgpr_spill_count: 0
    .symbol:         _ZL16dequantize_blockILi32ELi2EXadL_ZL15dequantize_q5_1PKvliR15HIP_vector_typeIfLj2EEEE6__halfEvS1_PT2_lllS2_IjLj3EElll.kd
    .uniform_work_group_size: 1
    .uses_dynamic_stack: false
    .vgpr_count:     13
    .vgpr_spill_count: 0
    .wavefront_size: 32
    .workgroup_processor_mode: 1
  - .args:
      - .actual_access:  read_only
        .address_space:  global
        .offset:         0
        .size:           8
        .value_kind:     global_buffer
      - .actual_access:  write_only
        .address_space:  global
        .offset:         8
        .size:           8
        .value_kind:     global_buffer
      - .offset:         16
        .size:           8
        .value_kind:     by_value
      - .offset:         24
        .size:           8
        .value_kind:     by_value
      - .offset:         32
        .size:           8
        .value_kind:     by_value
      - .offset:         40
        .size:           12
        .value_kind:     by_value
      - .offset:         56
        .size:           8
        .value_kind:     by_value
      - .offset:         64
        .size:           8
        .value_kind:     by_value
      - .offset:         72
        .size:           8
        .value_kind:     by_value
      - .offset:         80
        .size:           4
        .value_kind:     hidden_block_count_x
      - .offset:         84
        .size:           4
        .value_kind:     hidden_block_count_y
      - .offset:         88
        .size:           4
        .value_kind:     hidden_block_count_z
      - .offset:         92
        .size:           2
        .value_kind:     hidden_group_size_x
      - .offset:         94
        .size:           2
        .value_kind:     hidden_group_size_y
      - .offset:         96
        .size:           2
        .value_kind:     hidden_group_size_z
      - .offset:         98
        .size:           2
        .value_kind:     hidden_remainder_x
      - .offset:         100
        .size:           2
        .value_kind:     hidden_remainder_y
      - .offset:         102
        .size:           2
        .value_kind:     hidden_remainder_z
      - .offset:         120
        .size:           8
        .value_kind:     hidden_global_offset_x
      - .offset:         128
        .size:           8
        .value_kind:     hidden_global_offset_y
      - .offset:         136
        .size:           8
        .value_kind:     hidden_global_offset_z
      - .offset:         144
        .size:           2
        .value_kind:     hidden_grid_dims
    .group_segment_fixed_size: 0
    .kernarg_segment_align: 8
    .kernarg_segment_size: 336
    .language:       OpenCL C
    .language_version:
      - 2
      - 0
    .max_flat_workgroup_size: 1024
    .name:           _ZL16dequantize_blockILi32ELi1EXadL_ZL15dequantize_q8_0PKvliR15HIP_vector_typeIfLj2EEEE6__halfEvS1_PT2_lllS2_IjLj3EElll
    .private_segment_fixed_size: 0
    .sgpr_count:     43
    .sgpr_spill_count: 0
    .symbol:         _ZL16dequantize_blockILi32ELi1EXadL_ZL15dequantize_q8_0PKvliR15HIP_vector_typeIfLj2EEEE6__halfEvS1_PT2_lllS2_IjLj3EElll.kd
    .uniform_work_group_size: 1
    .uses_dynamic_stack: false
    .vgpr_count:     11
    .vgpr_spill_count: 0
    .wavefront_size: 32
    .workgroup_processor_mode: 1
  - .args:
      - .actual_access:  read_only
        .address_space:  global
        .offset:         0
        .size:           8
        .value_kind:     global_buffer
      - .actual_access:  write_only
        .address_space:  global
        .offset:         8
        .size:           8
        .value_kind:     global_buffer
      - .offset:         16
        .size:           8
        .value_kind:     by_value
      - .offset:         24
        .size:           8
        .value_kind:     by_value
      - .offset:         32
        .size:           8
        .value_kind:     by_value
      - .offset:         40
        .size:           12
        .value_kind:     by_value
      - .offset:         56
        .size:           8
        .value_kind:     by_value
      - .offset:         64
        .size:           8
        .value_kind:     by_value
      - .offset:         72
        .size:           8
        .value_kind:     by_value
      - .offset:         80
        .size:           4
        .value_kind:     hidden_block_count_x
      - .offset:         84
        .size:           4
        .value_kind:     hidden_block_count_y
      - .offset:         88
        .size:           4
        .value_kind:     hidden_block_count_z
      - .offset:         92
        .size:           2
        .value_kind:     hidden_group_size_x
      - .offset:         94
        .size:           2
        .value_kind:     hidden_group_size_y
      - .offset:         96
        .size:           2
        .value_kind:     hidden_group_size_z
      - .offset:         98
        .size:           2
        .value_kind:     hidden_remainder_x
      - .offset:         100
        .size:           2
        .value_kind:     hidden_remainder_y
      - .offset:         102
        .size:           2
        .value_kind:     hidden_remainder_z
      - .offset:         120
        .size:           8
        .value_kind:     hidden_global_offset_x
      - .offset:         128
        .size:           8
        .value_kind:     hidden_global_offset_y
      - .offset:         136
        .size:           8
        .value_kind:     hidden_global_offset_z
      - .offset:         144
        .size:           2
        .value_kind:     hidden_grid_dims
    .group_segment_fixed_size: 0
    .kernarg_segment_align: 8
    .kernarg_segment_size: 336
    .language:       OpenCL C
    .language_version:
      - 2
      - 0
    .max_flat_workgroup_size: 1024
    .name:           _ZL13convert_unaryI14__hip_bfloat166__halfEvPKvPT0_lll15HIP_vector_typeIjLj3EElll
    .private_segment_fixed_size: 0
    .sgpr_count:     88
    .sgpr_spill_count: 0
    .symbol:         _ZL13convert_unaryI14__hip_bfloat166__halfEvPKvPT0_lll15HIP_vector_typeIjLj3EElll.kd
    .uniform_work_group_size: 1
    .uses_dynamic_stack: false
    .vgpr_count:     10
    .vgpr_spill_count: 0
    .wavefront_size: 32
    .workgroup_processor_mode: 1
  - .args:
      - .actual_access:  read_only
        .address_space:  global
        .offset:         0
        .size:           8
        .value_kind:     global_buffer
      - .actual_access:  write_only
        .address_space:  global
        .offset:         8
        .size:           8
        .value_kind:     global_buffer
      - .offset:         16
        .size:           8
        .value_kind:     by_value
      - .offset:         24
        .size:           8
        .value_kind:     by_value
      - .offset:         32
        .size:           8
        .value_kind:     by_value
      - .offset:         40
        .size:           12
        .value_kind:     by_value
      - .offset:         56
        .size:           8
        .value_kind:     by_value
      - .offset:         64
        .size:           8
        .value_kind:     by_value
      - .offset:         72
        .size:           8
        .value_kind:     by_value
      - .offset:         80
        .size:           4
        .value_kind:     hidden_block_count_x
      - .offset:         84
        .size:           4
        .value_kind:     hidden_block_count_y
      - .offset:         88
        .size:           4
        .value_kind:     hidden_block_count_z
      - .offset:         92
        .size:           2
        .value_kind:     hidden_group_size_x
      - .offset:         94
        .size:           2
        .value_kind:     hidden_group_size_y
      - .offset:         96
        .size:           2
        .value_kind:     hidden_group_size_z
      - .offset:         98
        .size:           2
        .value_kind:     hidden_remainder_x
      - .offset:         100
        .size:           2
        .value_kind:     hidden_remainder_y
      - .offset:         102
        .size:           2
        .value_kind:     hidden_remainder_z
      - .offset:         120
        .size:           8
        .value_kind:     hidden_global_offset_x
      - .offset:         128
        .size:           8
        .value_kind:     hidden_global_offset_y
      - .offset:         136
        .size:           8
        .value_kind:     hidden_global_offset_z
      - .offset:         144
        .size:           2
        .value_kind:     hidden_grid_dims
    .group_segment_fixed_size: 0
    .kernarg_segment_align: 8
    .kernarg_segment_size: 336
    .language:       OpenCL C
    .language_version:
      - 2
      - 0
    .max_flat_workgroup_size: 1024
    .name:           _ZL13convert_unaryIf14__hip_bfloat16EvPKvPT0_lll15HIP_vector_typeIjLj3EElll
    .private_segment_fixed_size: 0
    .sgpr_count:     43
    .sgpr_spill_count: 0
    .symbol:         _ZL13convert_unaryIf14__hip_bfloat16EvPKvPT0_lll15HIP_vector_typeIjLj3EElll.kd
    .uniform_work_group_size: 1
    .uses_dynamic_stack: false
    .vgpr_count:     9
    .vgpr_spill_count: 0
    .wavefront_size: 32
    .workgroup_processor_mode: 1
  - .args:
      - .actual_access:  read_only
        .address_space:  global
        .offset:         0
        .size:           8
        .value_kind:     global_buffer
      - .actual_access:  write_only
        .address_space:  global
        .offset:         8
        .size:           8
        .value_kind:     global_buffer
      - .offset:         16
        .size:           8
        .value_kind:     by_value
      - .offset:         24
        .size:           8
        .value_kind:     by_value
      - .offset:         32
        .size:           8
        .value_kind:     by_value
      - .offset:         40
        .size:           12
        .value_kind:     by_value
      - .offset:         56
        .size:           8
        .value_kind:     by_value
      - .offset:         64
        .size:           8
        .value_kind:     by_value
      - .offset:         72
        .size:           8
        .value_kind:     by_value
      - .offset:         80
        .size:           4
        .value_kind:     hidden_block_count_x
      - .offset:         84
        .size:           4
        .value_kind:     hidden_block_count_y
      - .offset:         88
        .size:           4
        .value_kind:     hidden_block_count_z
      - .offset:         92
        .size:           2
        .value_kind:     hidden_group_size_x
      - .offset:         94
        .size:           2
        .value_kind:     hidden_group_size_y
      - .offset:         96
        .size:           2
        .value_kind:     hidden_group_size_z
      - .offset:         98
        .size:           2
        .value_kind:     hidden_remainder_x
      - .offset:         100
        .size:           2
        .value_kind:     hidden_remainder_y
      - .offset:         102
        .size:           2
        .value_kind:     hidden_remainder_z
      - .offset:         120
        .size:           8
        .value_kind:     hidden_global_offset_x
      - .offset:         128
        .size:           8
        .value_kind:     hidden_global_offset_y
      - .offset:         136
        .size:           8
        .value_kind:     hidden_global_offset_z
      - .offset:         144
        .size:           2
        .value_kind:     hidden_grid_dims
    .group_segment_fixed_size: 0
    .kernarg_segment_align: 8
    .kernarg_segment_size: 336
    .language:       OpenCL C
    .language_version:
      - 2
      - 0
    .max_flat_workgroup_size: 1024
    .name:           _ZL16dequantize_blockILi128ELi1EXadL_ZL15dequantize_q1_0PKvliR15HIP_vector_typeIfLj2EEEE14__hip_bfloat16EvS1_PT2_lllS2_IjLj3EElll
    .private_segment_fixed_size: 0
    .sgpr_count:     43
    .sgpr_spill_count: 0
    .symbol:         _ZL16dequantize_blockILi128ELi1EXadL_ZL15dequantize_q1_0PKvliR15HIP_vector_typeIfLj2EEEE14__hip_bfloat16EvS1_PT2_lllS2_IjLj3EElll.kd
    .uniform_work_group_size: 1
    .uses_dynamic_stack: false
    .vgpr_count:     15
    .vgpr_spill_count: 0
    .wavefront_size: 32
    .workgroup_processor_mode: 1
  - .args:
      - .actual_access:  read_only
        .address_space:  global
        .offset:         0
        .size:           8
        .value_kind:     global_buffer
      - .actual_access:  write_only
        .address_space:  global
        .offset:         8
        .size:           8
        .value_kind:     global_buffer
      - .offset:         16
        .size:           8
        .value_kind:     by_value
      - .offset:         24
        .size:           8
        .value_kind:     by_value
      - .offset:         32
        .size:           8
        .value_kind:     by_value
      - .offset:         40
        .size:           12
        .value_kind:     by_value
      - .offset:         56
        .size:           8
        .value_kind:     by_value
      - .offset:         64
        .size:           8
        .value_kind:     by_value
      - .offset:         72
        .size:           8
        .value_kind:     by_value
      - .offset:         80
        .size:           4
        .value_kind:     hidden_block_count_x
      - .offset:         84
        .size:           4
        .value_kind:     hidden_block_count_y
      - .offset:         88
        .size:           4
        .value_kind:     hidden_block_count_z
      - .offset:         92
        .size:           2
        .value_kind:     hidden_group_size_x
      - .offset:         94
        .size:           2
        .value_kind:     hidden_group_size_y
      - .offset:         96
        .size:           2
        .value_kind:     hidden_group_size_z
      - .offset:         98
        .size:           2
        .value_kind:     hidden_remainder_x
      - .offset:         100
        .size:           2
        .value_kind:     hidden_remainder_y
      - .offset:         102
        .size:           2
        .value_kind:     hidden_remainder_z
      - .offset:         120
        .size:           8
        .value_kind:     hidden_global_offset_x
      - .offset:         128
        .size:           8
        .value_kind:     hidden_global_offset_y
      - .offset:         136
        .size:           8
        .value_kind:     hidden_global_offset_z
      - .offset:         144
        .size:           2
        .value_kind:     hidden_grid_dims
    .group_segment_fixed_size: 0
    .kernarg_segment_align: 8
    .kernarg_segment_size: 336
    .language:       OpenCL C
    .language_version:
      - 2
      - 0
    .max_flat_workgroup_size: 1024
    .name:           _ZL16dequantize_blockILi32ELi2EXadL_ZL15dequantize_q4_0PKvliR15HIP_vector_typeIfLj2EEEE14__hip_bfloat16EvS1_PT2_lllS2_IjLj3EElll
    .private_segment_fixed_size: 0
    .sgpr_count:     43
    .sgpr_spill_count: 0
    .symbol:         _ZL16dequantize_blockILi32ELi2EXadL_ZL15dequantize_q4_0PKvliR15HIP_vector_typeIfLj2EEEE14__hip_bfloat16EvS1_PT2_lllS2_IjLj3EElll.kd
    .uniform_work_group_size: 1
    .uses_dynamic_stack: false
    .vgpr_count:     13
    .vgpr_spill_count: 0
    .wavefront_size: 32
    .workgroup_processor_mode: 1
  - .args:
      - .actual_access:  read_only
        .address_space:  global
        .offset:         0
        .size:           8
        .value_kind:     global_buffer
      - .actual_access:  write_only
        .address_space:  global
        .offset:         8
        .size:           8
        .value_kind:     global_buffer
      - .offset:         16
        .size:           8
        .value_kind:     by_value
      - .offset:         24
        .size:           8
        .value_kind:     by_value
      - .offset:         32
        .size:           8
        .value_kind:     by_value
      - .offset:         40
        .size:           12
        .value_kind:     by_value
      - .offset:         56
        .size:           8
        .value_kind:     by_value
      - .offset:         64
        .size:           8
        .value_kind:     by_value
      - .offset:         72
        .size:           8
        .value_kind:     by_value
      - .offset:         80
        .size:           4
        .value_kind:     hidden_block_count_x
      - .offset:         84
        .size:           4
        .value_kind:     hidden_block_count_y
      - .offset:         88
        .size:           4
        .value_kind:     hidden_block_count_z
      - .offset:         92
        .size:           2
        .value_kind:     hidden_group_size_x
      - .offset:         94
        .size:           2
        .value_kind:     hidden_group_size_y
      - .offset:         96
        .size:           2
        .value_kind:     hidden_group_size_z
      - .offset:         98
        .size:           2
        .value_kind:     hidden_remainder_x
      - .offset:         100
        .size:           2
        .value_kind:     hidden_remainder_y
      - .offset:         102
        .size:           2
        .value_kind:     hidden_remainder_z
      - .offset:         120
        .size:           8
        .value_kind:     hidden_global_offset_x
      - .offset:         128
        .size:           8
        .value_kind:     hidden_global_offset_y
      - .offset:         136
        .size:           8
        .value_kind:     hidden_global_offset_z
      - .offset:         144
        .size:           2
        .value_kind:     hidden_grid_dims
    .group_segment_fixed_size: 0
    .kernarg_segment_align: 8
    .kernarg_segment_size: 336
    .language:       OpenCL C
    .language_version:
      - 2
      - 0
    .max_flat_workgroup_size: 1024
    .name:           _ZL16dequantize_blockILi32ELi2EXadL_ZL15dequantize_q4_1PKvliR15HIP_vector_typeIfLj2EEEE14__hip_bfloat16EvS1_PT2_lllS2_IjLj3EElll
    .private_segment_fixed_size: 0
    .sgpr_count:     43
    .sgpr_spill_count: 0
    .symbol:         _ZL16dequantize_blockILi32ELi2EXadL_ZL15dequantize_q4_1PKvliR15HIP_vector_typeIfLj2EEEE14__hip_bfloat16EvS1_PT2_lllS2_IjLj3EElll.kd
    .uniform_work_group_size: 1
    .uses_dynamic_stack: false
    .vgpr_count:     13
    .vgpr_spill_count: 0
    .wavefront_size: 32
    .workgroup_processor_mode: 1
  - .args:
      - .actual_access:  read_only
        .address_space:  global
        .offset:         0
        .size:           8
        .value_kind:     global_buffer
      - .actual_access:  write_only
        .address_space:  global
        .offset:         8
        .size:           8
        .value_kind:     global_buffer
      - .offset:         16
        .size:           8
        .value_kind:     by_value
      - .offset:         24
        .size:           8
        .value_kind:     by_value
      - .offset:         32
        .size:           8
        .value_kind:     by_value
      - .offset:         40
        .size:           12
        .value_kind:     by_value
      - .offset:         56
        .size:           8
        .value_kind:     by_value
      - .offset:         64
        .size:           8
        .value_kind:     by_value
      - .offset:         72
        .size:           8
        .value_kind:     by_value
      - .offset:         80
        .size:           4
        .value_kind:     hidden_block_count_x
      - .offset:         84
        .size:           4
        .value_kind:     hidden_block_count_y
      - .offset:         88
        .size:           4
        .value_kind:     hidden_block_count_z
      - .offset:         92
        .size:           2
        .value_kind:     hidden_group_size_x
      - .offset:         94
        .size:           2
        .value_kind:     hidden_group_size_y
      - .offset:         96
        .size:           2
        .value_kind:     hidden_group_size_z
      - .offset:         98
        .size:           2
        .value_kind:     hidden_remainder_x
      - .offset:         100
        .size:           2
        .value_kind:     hidden_remainder_y
      - .offset:         102
        .size:           2
        .value_kind:     hidden_remainder_z
      - .offset:         120
        .size:           8
        .value_kind:     hidden_global_offset_x
      - .offset:         128
        .size:           8
        .value_kind:     hidden_global_offset_y
      - .offset:         136
        .size:           8
        .value_kind:     hidden_global_offset_z
      - .offset:         144
        .size:           2
        .value_kind:     hidden_grid_dims
    .group_segment_fixed_size: 0
    .kernarg_segment_align: 8
    .kernarg_segment_size: 336
    .language:       OpenCL C
    .language_version:
      - 2
      - 0
    .max_flat_workgroup_size: 1024
    .name:           _ZL16dequantize_blockILi32ELi2EXadL_ZL15dequantize_q5_0PKvliR15HIP_vector_typeIfLj2EEEE14__hip_bfloat16EvS1_PT2_lllS2_IjLj3EElll
    .private_segment_fixed_size: 0
    .sgpr_count:     43
    .sgpr_spill_count: 0
    .symbol:         _ZL16dequantize_blockILi32ELi2EXadL_ZL15dequantize_q5_0PKvliR15HIP_vector_typeIfLj2EEEE14__hip_bfloat16EvS1_PT2_lllS2_IjLj3EElll.kd
    .uniform_work_group_size: 1
    .uses_dynamic_stack: false
    .vgpr_count:     14
    .vgpr_spill_count: 0
    .wavefront_size: 32
    .workgroup_processor_mode: 1
  - .args:
      - .actual_access:  read_only
        .address_space:  global
        .offset:         0
        .size:           8
        .value_kind:     global_buffer
      - .actual_access:  write_only
        .address_space:  global
        .offset:         8
        .size:           8
        .value_kind:     global_buffer
      - .offset:         16
        .size:           8
        .value_kind:     by_value
      - .offset:         24
        .size:           8
        .value_kind:     by_value
      - .offset:         32
        .size:           8
        .value_kind:     by_value
      - .offset:         40
        .size:           12
        .value_kind:     by_value
      - .offset:         56
        .size:           8
        .value_kind:     by_value
      - .offset:         64
        .size:           8
        .value_kind:     by_value
      - .offset:         72
        .size:           8
        .value_kind:     by_value
      - .offset:         80
        .size:           4
        .value_kind:     hidden_block_count_x
      - .offset:         84
        .size:           4
        .value_kind:     hidden_block_count_y
      - .offset:         88
        .size:           4
        .value_kind:     hidden_block_count_z
      - .offset:         92
        .size:           2
        .value_kind:     hidden_group_size_x
      - .offset:         94
        .size:           2
        .value_kind:     hidden_group_size_y
      - .offset:         96
        .size:           2
        .value_kind:     hidden_group_size_z
      - .offset:         98
        .size:           2
        .value_kind:     hidden_remainder_x
      - .offset:         100
        .size:           2
        .value_kind:     hidden_remainder_y
      - .offset:         102
        .size:           2
        .value_kind:     hidden_remainder_z
      - .offset:         120
        .size:           8
        .value_kind:     hidden_global_offset_x
      - .offset:         128
        .size:           8
        .value_kind:     hidden_global_offset_y
      - .offset:         136
        .size:           8
        .value_kind:     hidden_global_offset_z
      - .offset:         144
        .size:           2
        .value_kind:     hidden_grid_dims
    .group_segment_fixed_size: 0
    .kernarg_segment_align: 8
    .kernarg_segment_size: 336
    .language:       OpenCL C
    .language_version:
      - 2
      - 0
    .max_flat_workgroup_size: 1024
    .name:           _ZL16dequantize_blockILi32ELi2EXadL_ZL15dequantize_q5_1PKvliR15HIP_vector_typeIfLj2EEEE14__hip_bfloat16EvS1_PT2_lllS2_IjLj3EElll
    .private_segment_fixed_size: 0
    .sgpr_count:     43
    .sgpr_spill_count: 0
    .symbol:         _ZL16dequantize_blockILi32ELi2EXadL_ZL15dequantize_q5_1PKvliR15HIP_vector_typeIfLj2EEEE14__hip_bfloat16EvS1_PT2_lllS2_IjLj3EElll.kd
    .uniform_work_group_size: 1
    .uses_dynamic_stack: false
    .vgpr_count:     14
    .vgpr_spill_count: 0
    .wavefront_size: 32
    .workgroup_processor_mode: 1
  - .args:
      - .actual_access:  read_only
        .address_space:  global
        .offset:         0
        .size:           8
        .value_kind:     global_buffer
      - .actual_access:  write_only
        .address_space:  global
        .offset:         8
        .size:           8
        .value_kind:     global_buffer
      - .offset:         16
        .size:           8
        .value_kind:     by_value
      - .offset:         24
        .size:           8
        .value_kind:     by_value
      - .offset:         32
        .size:           8
        .value_kind:     by_value
      - .offset:         40
        .size:           12
        .value_kind:     by_value
      - .offset:         56
        .size:           8
        .value_kind:     by_value
      - .offset:         64
        .size:           8
        .value_kind:     by_value
      - .offset:         72
        .size:           8
        .value_kind:     by_value
      - .offset:         80
        .size:           4
        .value_kind:     hidden_block_count_x
      - .offset:         84
        .size:           4
        .value_kind:     hidden_block_count_y
      - .offset:         88
        .size:           4
        .value_kind:     hidden_block_count_z
      - .offset:         92
        .size:           2
        .value_kind:     hidden_group_size_x
      - .offset:         94
        .size:           2
        .value_kind:     hidden_group_size_y
      - .offset:         96
        .size:           2
        .value_kind:     hidden_group_size_z
      - .offset:         98
        .size:           2
        .value_kind:     hidden_remainder_x
      - .offset:         100
        .size:           2
        .value_kind:     hidden_remainder_y
      - .offset:         102
        .size:           2
        .value_kind:     hidden_remainder_z
      - .offset:         120
        .size:           8
        .value_kind:     hidden_global_offset_x
      - .offset:         128
        .size:           8
        .value_kind:     hidden_global_offset_y
      - .offset:         136
        .size:           8
        .value_kind:     hidden_global_offset_z
      - .offset:         144
        .size:           2
        .value_kind:     hidden_grid_dims
    .group_segment_fixed_size: 0
    .kernarg_segment_align: 8
    .kernarg_segment_size: 336
    .language:       OpenCL C
    .language_version:
      - 2
      - 0
    .max_flat_workgroup_size: 1024
    .name:           _ZL16dequantize_blockILi32ELi1EXadL_ZL15dequantize_q8_0PKvliR15HIP_vector_typeIfLj2EEEE14__hip_bfloat16EvS1_PT2_lllS2_IjLj3EElll
    .private_segment_fixed_size: 0
    .sgpr_count:     43
    .sgpr_spill_count: 0
    .symbol:         _ZL16dequantize_blockILi32ELi1EXadL_ZL15dequantize_q8_0PKvliR15HIP_vector_typeIfLj2EEEE14__hip_bfloat16EvS1_PT2_lllS2_IjLj3EElll.kd
    .uniform_work_group_size: 1
    .uses_dynamic_stack: false
    .vgpr_count:     13
    .vgpr_spill_count: 0
    .wavefront_size: 32
    .workgroup_processor_mode: 1
  - .args:
      - .actual_access:  read_only
        .address_space:  global
        .offset:         0
        .size:           8
        .value_kind:     global_buffer
      - .actual_access:  write_only
        .address_space:  global
        .offset:         8
        .size:           8
        .value_kind:     global_buffer
      - .offset:         16
        .size:           8
        .value_kind:     by_value
      - .offset:         24
        .size:           8
        .value_kind:     by_value
      - .offset:         32
        .size:           8
        .value_kind:     by_value
      - .offset:         40
        .size:           12
        .value_kind:     by_value
      - .offset:         56
        .size:           8
        .value_kind:     by_value
      - .offset:         64
        .size:           8
        .value_kind:     by_value
      - .offset:         72
        .size:           8
        .value_kind:     by_value
      - .offset:         80
        .size:           4
        .value_kind:     hidden_block_count_x
      - .offset:         84
        .size:           4
        .value_kind:     hidden_block_count_y
      - .offset:         88
        .size:           4
        .value_kind:     hidden_block_count_z
      - .offset:         92
        .size:           2
        .value_kind:     hidden_group_size_x
      - .offset:         94
        .size:           2
        .value_kind:     hidden_group_size_y
      - .offset:         96
        .size:           2
        .value_kind:     hidden_group_size_z
      - .offset:         98
        .size:           2
        .value_kind:     hidden_remainder_x
      - .offset:         100
        .size:           2
        .value_kind:     hidden_remainder_y
      - .offset:         102
        .size:           2
        .value_kind:     hidden_remainder_z
      - .offset:         120
        .size:           8
        .value_kind:     hidden_global_offset_x
      - .offset:         128
        .size:           8
        .value_kind:     hidden_global_offset_y
      - .offset:         136
        .size:           8
        .value_kind:     hidden_global_offset_z
      - .offset:         144
        .size:           2
        .value_kind:     hidden_grid_dims
    .group_segment_fixed_size: 0
    .kernarg_segment_align: 8
    .kernarg_segment_size: 336
    .language:       OpenCL C
    .language_version:
      - 2
      - 0
    .max_flat_workgroup_size: 1024
    .name:           _ZL13convert_unaryI6__half14__hip_bfloat16EvPKvPT0_lll15HIP_vector_typeIjLj3EElll
    .private_segment_fixed_size: 0
    .sgpr_count:     88
    .sgpr_spill_count: 0
    .symbol:         _ZL13convert_unaryI6__half14__hip_bfloat16EvPKvPT0_lll15HIP_vector_typeIjLj3EElll.kd
    .uniform_work_group_size: 1
    .uses_dynamic_stack: false
    .vgpr_count:     14
    .vgpr_spill_count: 0
    .wavefront_size: 32
    .workgroup_processor_mode: 1
  - .args:
      - .actual_access:  read_only
        .address_space:  global
        .offset:         0
        .size:           8
        .value_kind:     global_buffer
      - .actual_access:  write_only
        .address_space:  global
        .offset:         8
        .size:           8
        .value_kind:     global_buffer
      - .offset:         16
        .size:           8
        .value_kind:     by_value
      - .offset:         24
        .size:           8
        .value_kind:     by_value
      - .offset:         32
        .size:           8
        .value_kind:     by_value
      - .offset:         40
        .size:           12
        .value_kind:     by_value
      - .offset:         56
        .size:           8
        .value_kind:     by_value
      - .offset:         64
        .size:           8
        .value_kind:     by_value
      - .offset:         72
        .size:           8
        .value_kind:     by_value
      - .offset:         80
        .size:           4
        .value_kind:     hidden_block_count_x
      - .offset:         84
        .size:           4
        .value_kind:     hidden_block_count_y
      - .offset:         88
        .size:           4
        .value_kind:     hidden_block_count_z
      - .offset:         92
        .size:           2
        .value_kind:     hidden_group_size_x
      - .offset:         94
        .size:           2
        .value_kind:     hidden_group_size_y
      - .offset:         96
        .size:           2
        .value_kind:     hidden_group_size_z
      - .offset:         98
        .size:           2
        .value_kind:     hidden_remainder_x
      - .offset:         100
        .size:           2
        .value_kind:     hidden_remainder_y
      - .offset:         102
        .size:           2
        .value_kind:     hidden_remainder_z
      - .offset:         120
        .size:           8
        .value_kind:     hidden_global_offset_x
      - .offset:         128
        .size:           8
        .value_kind:     hidden_global_offset_y
      - .offset:         136
        .size:           8
        .value_kind:     hidden_global_offset_z
      - .offset:         144
        .size:           2
        .value_kind:     hidden_grid_dims
    .group_segment_fixed_size: 0
    .kernarg_segment_align: 8
    .kernarg_segment_size: 336
    .language:       OpenCL C
    .language_version:
      - 2
      - 0
    .max_flat_workgroup_size: 1024
    .name:           _ZL13convert_unaryI6__halffEvPKvPT0_lll15HIP_vector_typeIjLj3EElll
    .private_segment_fixed_size: 0
    .sgpr_count:     43
    .sgpr_spill_count: 0
    .symbol:         _ZL13convert_unaryI6__halffEvPKvPT0_lll15HIP_vector_typeIjLj3EElll.kd
    .uniform_work_group_size: 1
    .uses_dynamic_stack: false
    .vgpr_count:     8
    .vgpr_spill_count: 0
    .wavefront_size: 32
    .workgroup_processor_mode: 1
  - .args:
      - .actual_access:  read_only
        .address_space:  global
        .offset:         0
        .size:           8
        .value_kind:     global_buffer
      - .actual_access:  write_only
        .address_space:  global
        .offset:         8
        .size:           8
        .value_kind:     global_buffer
      - .offset:         16
        .size:           8
        .value_kind:     by_value
      - .offset:         24
        .size:           8
        .value_kind:     by_value
      - .offset:         32
        .size:           8
        .value_kind:     by_value
      - .offset:         40
        .size:           12
        .value_kind:     by_value
      - .offset:         56
        .size:           8
        .value_kind:     by_value
      - .offset:         64
        .size:           8
        .value_kind:     by_value
      - .offset:         72
        .size:           8
        .value_kind:     by_value
      - .offset:         80
        .size:           4
        .value_kind:     hidden_block_count_x
      - .offset:         84
        .size:           4
        .value_kind:     hidden_block_count_y
      - .offset:         88
        .size:           4
        .value_kind:     hidden_block_count_z
      - .offset:         92
        .size:           2
        .value_kind:     hidden_group_size_x
      - .offset:         94
        .size:           2
        .value_kind:     hidden_group_size_y
      - .offset:         96
        .size:           2
        .value_kind:     hidden_group_size_z
      - .offset:         98
        .size:           2
        .value_kind:     hidden_remainder_x
      - .offset:         100
        .size:           2
        .value_kind:     hidden_remainder_y
      - .offset:         102
        .size:           2
        .value_kind:     hidden_remainder_z
      - .offset:         120
        .size:           8
        .value_kind:     hidden_global_offset_x
      - .offset:         128
        .size:           8
        .value_kind:     hidden_global_offset_y
      - .offset:         136
        .size:           8
        .value_kind:     hidden_global_offset_z
      - .offset:         144
        .size:           2
        .value_kind:     hidden_grid_dims
    .group_segment_fixed_size: 0
    .kernarg_segment_align: 8
    .kernarg_segment_size: 336
    .language:       OpenCL C
    .language_version:
      - 2
      - 0
    .max_flat_workgroup_size: 1024
    .name:           _ZL16dequantize_blockILi128ELi1EXadL_ZL15dequantize_q1_0PKvliR15HIP_vector_typeIfLj2EEEEfEvS1_PT2_lllS2_IjLj3EElll
    .private_segment_fixed_size: 0
    .sgpr_count:     43
    .sgpr_spill_count: 0
    .symbol:         _ZL16dequantize_blockILi128ELi1EXadL_ZL15dequantize_q1_0PKvliR15HIP_vector_typeIfLj2EEEEfEvS1_PT2_lllS2_IjLj3EElll.kd
    .uniform_work_group_size: 1
    .uses_dynamic_stack: false
    .vgpr_count:     13
    .vgpr_spill_count: 0
    .wavefront_size: 32
    .workgroup_processor_mode: 1
  - .args:
      - .actual_access:  read_only
        .address_space:  global
        .offset:         0
        .size:           8
        .value_kind:     global_buffer
      - .actual_access:  write_only
        .address_space:  global
        .offset:         8
        .size:           8
        .value_kind:     global_buffer
      - .offset:         16
        .size:           8
        .value_kind:     by_value
      - .offset:         24
        .size:           8
        .value_kind:     by_value
      - .offset:         32
        .size:           8
        .value_kind:     by_value
      - .offset:         40
        .size:           12
        .value_kind:     by_value
      - .offset:         56
        .size:           8
        .value_kind:     by_value
      - .offset:         64
        .size:           8
        .value_kind:     by_value
      - .offset:         72
        .size:           8
        .value_kind:     by_value
      - .offset:         80
        .size:           4
        .value_kind:     hidden_block_count_x
      - .offset:         84
        .size:           4
        .value_kind:     hidden_block_count_y
      - .offset:         88
        .size:           4
        .value_kind:     hidden_block_count_z
      - .offset:         92
        .size:           2
        .value_kind:     hidden_group_size_x
      - .offset:         94
        .size:           2
        .value_kind:     hidden_group_size_y
      - .offset:         96
        .size:           2
        .value_kind:     hidden_group_size_z
      - .offset:         98
        .size:           2
        .value_kind:     hidden_remainder_x
      - .offset:         100
        .size:           2
        .value_kind:     hidden_remainder_y
      - .offset:         102
        .size:           2
        .value_kind:     hidden_remainder_z
      - .offset:         120
        .size:           8
        .value_kind:     hidden_global_offset_x
      - .offset:         128
        .size:           8
        .value_kind:     hidden_global_offset_y
      - .offset:         136
        .size:           8
        .value_kind:     hidden_global_offset_z
      - .offset:         144
        .size:           2
        .value_kind:     hidden_grid_dims
    .group_segment_fixed_size: 0
    .kernarg_segment_align: 8
    .kernarg_segment_size: 336
    .language:       OpenCL C
    .language_version:
      - 2
      - 0
    .max_flat_workgroup_size: 1024
    .name:           _ZL16dequantize_blockILi32ELi2EXadL_ZL15dequantize_q4_0PKvliR15HIP_vector_typeIfLj2EEEEfEvS1_PT2_lllS2_IjLj3EElll
    .private_segment_fixed_size: 0
    .sgpr_count:     43
    .sgpr_spill_count: 0
    .symbol:         _ZL16dequantize_blockILi32ELi2EXadL_ZL15dequantize_q4_0PKvliR15HIP_vector_typeIfLj2EEEEfEvS1_PT2_lllS2_IjLj3EElll.kd
    .uniform_work_group_size: 1
    .uses_dynamic_stack: false
    .vgpr_count:     11
    .vgpr_spill_count: 0
    .wavefront_size: 32
    .workgroup_processor_mode: 1
  - .args:
      - .actual_access:  read_only
        .address_space:  global
        .offset:         0
        .size:           8
        .value_kind:     global_buffer
      - .actual_access:  write_only
        .address_space:  global
        .offset:         8
        .size:           8
        .value_kind:     global_buffer
      - .offset:         16
        .size:           8
        .value_kind:     by_value
      - .offset:         24
        .size:           8
        .value_kind:     by_value
      - .offset:         32
        .size:           8
        .value_kind:     by_value
      - .offset:         40
        .size:           12
        .value_kind:     by_value
      - .offset:         56
        .size:           8
        .value_kind:     by_value
      - .offset:         64
        .size:           8
        .value_kind:     by_value
      - .offset:         72
        .size:           8
        .value_kind:     by_value
      - .offset:         80
        .size:           4
        .value_kind:     hidden_block_count_x
      - .offset:         84
        .size:           4
        .value_kind:     hidden_block_count_y
      - .offset:         88
        .size:           4
        .value_kind:     hidden_block_count_z
      - .offset:         92
        .size:           2
        .value_kind:     hidden_group_size_x
      - .offset:         94
        .size:           2
        .value_kind:     hidden_group_size_y
      - .offset:         96
        .size:           2
        .value_kind:     hidden_group_size_z
      - .offset:         98
        .size:           2
        .value_kind:     hidden_remainder_x
      - .offset:         100
        .size:           2
        .value_kind:     hidden_remainder_y
      - .offset:         102
        .size:           2
        .value_kind:     hidden_remainder_z
      - .offset:         120
        .size:           8
        .value_kind:     hidden_global_offset_x
      - .offset:         128
        .size:           8
        .value_kind:     hidden_global_offset_y
      - .offset:         136
        .size:           8
        .value_kind:     hidden_global_offset_z
      - .offset:         144
        .size:           2
        .value_kind:     hidden_grid_dims
    .group_segment_fixed_size: 0
    .kernarg_segment_align: 8
    .kernarg_segment_size: 336
    .language:       OpenCL C
    .language_version:
      - 2
      - 0
    .max_flat_workgroup_size: 1024
    .name:           _ZL16dequantize_blockILi32ELi2EXadL_ZL15dequantize_q4_1PKvliR15HIP_vector_typeIfLj2EEEEfEvS1_PT2_lllS2_IjLj3EElll
    .private_segment_fixed_size: 0
    .sgpr_count:     43
    .sgpr_spill_count: 0
    .symbol:         _ZL16dequantize_blockILi32ELi2EXadL_ZL15dequantize_q4_1PKvliR15HIP_vector_typeIfLj2EEEEfEvS1_PT2_lllS2_IjLj3EElll.kd
    .uniform_work_group_size: 1
    .uses_dynamic_stack: false
    .vgpr_count:     11
    .vgpr_spill_count: 0
    .wavefront_size: 32
    .workgroup_processor_mode: 1
  - .args:
      - .actual_access:  read_only
        .address_space:  global
        .offset:         0
        .size:           8
        .value_kind:     global_buffer
      - .actual_access:  write_only
        .address_space:  global
        .offset:         8
        .size:           8
        .value_kind:     global_buffer
      - .offset:         16
        .size:           8
        .value_kind:     by_value
      - .offset:         24
        .size:           8
        .value_kind:     by_value
      - .offset:         32
        .size:           8
        .value_kind:     by_value
      - .offset:         40
        .size:           12
        .value_kind:     by_value
      - .offset:         56
        .size:           8
        .value_kind:     by_value
      - .offset:         64
        .size:           8
        .value_kind:     by_value
      - .offset:         72
        .size:           8
        .value_kind:     by_value
      - .offset:         80
        .size:           4
        .value_kind:     hidden_block_count_x
      - .offset:         84
        .size:           4
        .value_kind:     hidden_block_count_y
      - .offset:         88
        .size:           4
        .value_kind:     hidden_block_count_z
      - .offset:         92
        .size:           2
        .value_kind:     hidden_group_size_x
      - .offset:         94
        .size:           2
        .value_kind:     hidden_group_size_y
      - .offset:         96
        .size:           2
        .value_kind:     hidden_group_size_z
      - .offset:         98
        .size:           2
        .value_kind:     hidden_remainder_x
      - .offset:         100
        .size:           2
        .value_kind:     hidden_remainder_y
      - .offset:         102
        .size:           2
        .value_kind:     hidden_remainder_z
      - .offset:         120
        .size:           8
        .value_kind:     hidden_global_offset_x
      - .offset:         128
        .size:           8
        .value_kind:     hidden_global_offset_y
      - .offset:         136
        .size:           8
        .value_kind:     hidden_global_offset_z
      - .offset:         144
        .size:           2
        .value_kind:     hidden_grid_dims
    .group_segment_fixed_size: 0
    .kernarg_segment_align: 8
    .kernarg_segment_size: 336
    .language:       OpenCL C
    .language_version:
      - 2
      - 0
    .max_flat_workgroup_size: 1024
    .name:           _ZL16dequantize_blockILi32ELi2EXadL_ZL15dequantize_q5_0PKvliR15HIP_vector_typeIfLj2EEEEfEvS1_PT2_lllS2_IjLj3EElll
    .private_segment_fixed_size: 0
    .sgpr_count:     43
    .sgpr_spill_count: 0
    .symbol:         _ZL16dequantize_blockILi32ELi2EXadL_ZL15dequantize_q5_0PKvliR15HIP_vector_typeIfLj2EEEEfEvS1_PT2_lllS2_IjLj3EElll.kd
    .uniform_work_group_size: 1
    .uses_dynamic_stack: false
    .vgpr_count:     13
    .vgpr_spill_count: 0
    .wavefront_size: 32
    .workgroup_processor_mode: 1
  - .args:
      - .actual_access:  read_only
        .address_space:  global
        .offset:         0
        .size:           8
        .value_kind:     global_buffer
      - .actual_access:  write_only
        .address_space:  global
        .offset:         8
        .size:           8
        .value_kind:     global_buffer
      - .offset:         16
        .size:           8
        .value_kind:     by_value
      - .offset:         24
        .size:           8
        .value_kind:     by_value
      - .offset:         32
        .size:           8
        .value_kind:     by_value
      - .offset:         40
        .size:           12
        .value_kind:     by_value
      - .offset:         56
        .size:           8
        .value_kind:     by_value
      - .offset:         64
        .size:           8
        .value_kind:     by_value
      - .offset:         72
        .size:           8
        .value_kind:     by_value
      - .offset:         80
        .size:           4
        .value_kind:     hidden_block_count_x
      - .offset:         84
        .size:           4
        .value_kind:     hidden_block_count_y
      - .offset:         88
        .size:           4
        .value_kind:     hidden_block_count_z
      - .offset:         92
        .size:           2
        .value_kind:     hidden_group_size_x
      - .offset:         94
        .size:           2
        .value_kind:     hidden_group_size_y
      - .offset:         96
        .size:           2
        .value_kind:     hidden_group_size_z
      - .offset:         98
        .size:           2
        .value_kind:     hidden_remainder_x
      - .offset:         100
        .size:           2
        .value_kind:     hidden_remainder_y
      - .offset:         102
        .size:           2
        .value_kind:     hidden_remainder_z
      - .offset:         120
        .size:           8
        .value_kind:     hidden_global_offset_x
      - .offset:         128
        .size:           8
        .value_kind:     hidden_global_offset_y
      - .offset:         136
        .size:           8
        .value_kind:     hidden_global_offset_z
      - .offset:         144
        .size:           2
        .value_kind:     hidden_grid_dims
    .group_segment_fixed_size: 0
    .kernarg_segment_align: 8
    .kernarg_segment_size: 336
    .language:       OpenCL C
    .language_version:
      - 2
      - 0
    .max_flat_workgroup_size: 1024
    .name:           _ZL16dequantize_blockILi32ELi2EXadL_ZL15dequantize_q5_1PKvliR15HIP_vector_typeIfLj2EEEEfEvS1_PT2_lllS2_IjLj3EElll
    .private_segment_fixed_size: 0
    .sgpr_count:     43
    .sgpr_spill_count: 0
    .symbol:         _ZL16dequantize_blockILi32ELi2EXadL_ZL15dequantize_q5_1PKvliR15HIP_vector_typeIfLj2EEEEfEvS1_PT2_lllS2_IjLj3EElll.kd
    .uniform_work_group_size: 1
    .uses_dynamic_stack: false
    .vgpr_count:     13
    .vgpr_spill_count: 0
    .wavefront_size: 32
    .workgroup_processor_mode: 1
  - .args:
      - .actual_access:  read_only
        .address_space:  global
        .offset:         0
        .size:           8
        .value_kind:     global_buffer
      - .actual_access:  write_only
        .address_space:  global
        .offset:         8
        .size:           8
        .value_kind:     global_buffer
      - .offset:         16
        .size:           8
        .value_kind:     by_value
      - .offset:         24
        .size:           8
        .value_kind:     by_value
      - .offset:         32
        .size:           8
        .value_kind:     by_value
      - .offset:         40
        .size:           12
        .value_kind:     by_value
      - .offset:         56
        .size:           8
        .value_kind:     by_value
      - .offset:         64
        .size:           8
        .value_kind:     by_value
      - .offset:         72
        .size:           8
        .value_kind:     by_value
      - .offset:         80
        .size:           4
        .value_kind:     hidden_block_count_x
      - .offset:         84
        .size:           4
        .value_kind:     hidden_block_count_y
      - .offset:         88
        .size:           4
        .value_kind:     hidden_block_count_z
      - .offset:         92
        .size:           2
        .value_kind:     hidden_group_size_x
      - .offset:         94
        .size:           2
        .value_kind:     hidden_group_size_y
      - .offset:         96
        .size:           2
        .value_kind:     hidden_group_size_z
      - .offset:         98
        .size:           2
        .value_kind:     hidden_remainder_x
      - .offset:         100
        .size:           2
        .value_kind:     hidden_remainder_y
      - .offset:         102
        .size:           2
        .value_kind:     hidden_remainder_z
      - .offset:         120
        .size:           8
        .value_kind:     hidden_global_offset_x
      - .offset:         128
        .size:           8
        .value_kind:     hidden_global_offset_y
      - .offset:         136
        .size:           8
        .value_kind:     hidden_global_offset_z
      - .offset:         144
        .size:           2
        .value_kind:     hidden_grid_dims
    .group_segment_fixed_size: 0
    .kernarg_segment_align: 8
    .kernarg_segment_size: 336
    .language:       OpenCL C
    .language_version:
      - 2
      - 0
    .max_flat_workgroup_size: 1024
    .name:           _ZL16dequantize_blockILi32ELi1EXadL_ZL15dequantize_q8_0PKvliR15HIP_vector_typeIfLj2EEEEfEvS1_PT2_lllS2_IjLj3EElll
    .private_segment_fixed_size: 0
    .sgpr_count:     43
    .sgpr_spill_count: 0
    .symbol:         _ZL16dequantize_blockILi32ELi1EXadL_ZL15dequantize_q8_0PKvliR15HIP_vector_typeIfLj2EEEEfEvS1_PT2_lllS2_IjLj3EElll.kd
    .uniform_work_group_size: 1
    .uses_dynamic_stack: false
    .vgpr_count:     11
    .vgpr_spill_count: 0
    .wavefront_size: 32
    .workgroup_processor_mode: 1
  - .args:
      - .actual_access:  read_only
        .address_space:  global
        .offset:         0
        .size:           8
        .value_kind:     global_buffer
      - .actual_access:  write_only
        .address_space:  global
        .offset:         8
        .size:           8
        .value_kind:     global_buffer
      - .offset:         16
        .size:           8
        .value_kind:     by_value
      - .offset:         24
        .size:           8
        .value_kind:     by_value
      - .offset:         32
        .size:           8
        .value_kind:     by_value
      - .offset:         40
        .size:           12
        .value_kind:     by_value
      - .offset:         56
        .size:           8
        .value_kind:     by_value
      - .offset:         64
        .size:           8
        .value_kind:     by_value
      - .offset:         72
        .size:           8
        .value_kind:     by_value
      - .offset:         80
        .size:           4
        .value_kind:     hidden_block_count_x
      - .offset:         84
        .size:           4
        .value_kind:     hidden_block_count_y
      - .offset:         88
        .size:           4
        .value_kind:     hidden_block_count_z
      - .offset:         92
        .size:           2
        .value_kind:     hidden_group_size_x
      - .offset:         94
        .size:           2
        .value_kind:     hidden_group_size_y
      - .offset:         96
        .size:           2
        .value_kind:     hidden_group_size_z
      - .offset:         98
        .size:           2
        .value_kind:     hidden_remainder_x
      - .offset:         100
        .size:           2
        .value_kind:     hidden_remainder_y
      - .offset:         102
        .size:           2
        .value_kind:     hidden_remainder_z
      - .offset:         120
        .size:           8
        .value_kind:     hidden_global_offset_x
      - .offset:         128
        .size:           8
        .value_kind:     hidden_global_offset_y
      - .offset:         136
        .size:           8
        .value_kind:     hidden_global_offset_z
      - .offset:         144
        .size:           2
        .value_kind:     hidden_grid_dims
    .group_segment_fixed_size: 0
    .kernarg_segment_align: 8
    .kernarg_segment_size: 336
    .language:       OpenCL C
    .language_version:
      - 2
      - 0
    .max_flat_workgroup_size: 1024
    .name:           _ZL13convert_unaryI14__hip_bfloat16fEvPKvPT0_lll15HIP_vector_typeIjLj3EElll
    .private_segment_fixed_size: 0
    .sgpr_count:     43
    .sgpr_spill_count: 0
    .symbol:         _ZL13convert_unaryI14__hip_bfloat16fEvPKvPT0_lll15HIP_vector_typeIjLj3EElll.kd
    .uniform_work_group_size: 1
    .uses_dynamic_stack: false
    .vgpr_count:     8
    .vgpr_spill_count: 0
    .wavefront_size: 32
    .workgroup_processor_mode: 1
amdhsa.target:   amdgcn-amd-amdhsa--gfx1030
amdhsa.version:
  - 1
  - 2
...

	.end_amdgpu_metadata
